;; amdgpu-corpus repo=ROCm/rocFFT kind=compiled arch=gfx1030 opt=O3
	.text
	.amdgcn_target "amdgcn-amd-amdhsa--gfx1030"
	.amdhsa_code_object_version 6
	.protected	bluestein_single_back_len918_dim1_sp_op_CI_CI ; -- Begin function bluestein_single_back_len918_dim1_sp_op_CI_CI
	.globl	bluestein_single_back_len918_dim1_sp_op_CI_CI
	.p2align	8
	.type	bluestein_single_back_len918_dim1_sp_op_CI_CI,@function
bluestein_single_back_len918_dim1_sp_op_CI_CI: ; @bluestein_single_back_len918_dim1_sp_op_CI_CI
; %bb.0:
	s_load_dwordx4 s[0:3], s[4:5], 0x28
	v_mul_u32_u24_e32 v1, 0x283, v0
	v_mov_b32_e32 v63, 0
	v_lshrrev_b32_e32 v1, 16, v1
	v_add_nc_u32_e32 v62, s6, v1
	s_waitcnt lgkmcnt(0)
	v_cmp_gt_u64_e32 vcc_lo, s[0:1], v[62:63]
	s_and_saveexec_b32 s0, vcc_lo
	s_cbranch_execz .LBB0_23
; %bb.1:
	s_clause 0x1
	s_load_dwordx2 s[12:13], s[4:5], 0x0
	s_load_dwordx2 s[14:15], s[4:5], 0x38
	v_mul_lo_u16 v1, 0x66, v1
	v_sub_nc_u16 v0, v0, v1
	v_and_b32_e32 v90, 0xffff, v0
	v_cmp_gt_u16_e32 vcc_lo, 54, v0
	v_lshlrev_b32_e32 v89, 3, v90
	s_and_saveexec_b32 s1, vcc_lo
	s_cbranch_execz .LBB0_3
; %bb.2:
	s_load_dwordx2 s[6:7], s[4:5], 0x18
	s_waitcnt lgkmcnt(0)
	v_add_co_u32 v21, s0, s12, v89
	v_add_co_ci_u32_e64 v22, null, s13, 0, s0
	v_add_nc_u32_e32 v71, 0x400, v89
	v_add_co_u32 v14, s0, 0x800, v21
	v_add_co_ci_u32_e64 v15, s0, 0, v22, s0
	v_add_nc_u32_e32 v72, 0x800, v89
	v_add_nc_u32_e32 v73, 0x1000, v89
	s_load_dwordx4 s[8:11], s[6:7], 0x0
	s_clause 0x4
	global_load_dwordx2 v[0:1], v89, s[12:13]
	global_load_dwordx2 v[2:3], v89, s[12:13] offset:432
	global_load_dwordx2 v[4:5], v89, s[12:13] offset:864
	;; [unrolled: 1-line block ×4, first 2 shown]
	s_waitcnt lgkmcnt(0)
	v_mad_u64_u32 v[8:9], null, s10, v62, 0
	v_mad_u64_u32 v[10:11], null, s8, v90, 0
	s_mul_i32 s6, s9, 0x1b0
	s_mul_hi_u32 s7, s8, 0x1b0
	s_add_i32 s7, s7, s6
	v_mad_u64_u32 v[16:17], null, s11, v62, v[9:10]
	v_add_co_u32 v17, s0, 0x1000, v21
	v_add_co_ci_u32_e64 v18, s0, 0, v22, s0
	v_mov_b32_e32 v9, v16
	v_lshlrev_b64 v[8:9], 3, v[8:9]
	s_waitcnt vmcnt(0)
	v_mad_u64_u32 v[19:20], null, s9, v90, v[11:12]
	v_add_co_u32 v20, s0, 0x1800, v21
	v_add_co_ci_u32_e64 v21, s0, 0, v22, s0
	v_add_co_u32 v8, s0, s2, v8
	v_mov_b32_e32 v11, v19
	v_add_co_ci_u32_e64 v9, s0, s3, v9, s0
	s_mul_i32 s2, s8, 0x1b0
	s_clause 0x3
	global_load_dwordx2 v[22:23], v[14:15], off offset:112
	global_load_dwordx2 v[24:25], v[14:15], off offset:544
	global_load_dwordx2 v[26:27], v[14:15], off offset:976
	global_load_dwordx2 v[28:29], v[14:15], off offset:1408
	v_lshlrev_b64 v[10:11], 3, v[10:11]
	s_clause 0x5
	global_load_dwordx2 v[14:15], v[14:15], off offset:1840
	global_load_dwordx2 v[30:31], v[17:18], off offset:224
	;; [unrolled: 1-line block ×6, first 2 shown]
	v_add_co_u32 v8, s0, v8, v10
	v_add_co_ci_u32_e64 v9, s0, v9, v11, s0
	v_add_co_u32 v10, s0, v8, s2
	v_add_co_ci_u32_e64 v11, s0, s7, v9, s0
	global_load_dwordx2 v[8:9], v[8:9], off
	v_add_co_u32 v38, s0, v10, s2
	v_add_co_ci_u32_e64 v39, s0, s7, v11, s0
	v_add_co_u32 v18, s0, v38, s2
	v_add_co_ci_u32_e64 v19, s0, s7, v39, s0
	v_add_co_u32 v40, s0, v18, s2
	v_add_co_ci_u32_e64 v41, s0, s7, v19, s0
	s_clause 0x2
	global_load_dwordx2 v[10:11], v[10:11], off
	global_load_dwordx2 v[38:39], v[38:39], off
	;; [unrolled: 1-line block ×3, first 2 shown]
	v_add_co_u32 v42, s0, v40, s2
	v_add_co_ci_u32_e64 v43, s0, s7, v41, s0
	global_load_dwordx2 v[40:41], v[40:41], off
	v_add_co_u32 v44, s0, v42, s2
	v_add_co_ci_u32_e64 v45, s0, s7, v43, s0
	global_load_dwordx2 v[42:43], v[42:43], off
	;; [unrolled: 3-line block ×12, first 2 shown]
	s_clause 0x1
	global_load_dwordx2 v[67:68], v[20:21], off offset:336
	global_load_dwordx2 v[20:21], v[20:21], off offset:768
	global_load_dwordx2 v[65:66], v[65:66], off
	s_waitcnt vmcnt(18)
	v_mul_f32_e32 v70, v8, v1
	v_mul_f32_e32 v69, v9, v1
	v_fma_f32 v70, v9, v0, -v70
	v_fmac_f32_e32 v69, v8, v0
	s_waitcnt vmcnt(17)
	v_mul_f32_e32 v1, v10, v3
	v_mul_f32_e32 v0, v11, v3
	s_waitcnt vmcnt(16)
	v_mul_f32_e32 v9, v38, v5
	v_mul_f32_e32 v8, v39, v5
	;; [unrolled: 3-line block ×3, first 2 shown]
	v_fma_f32 v1, v11, v2, -v1
	v_fmac_f32_e32 v0, v10, v2
	v_fma_f32 v9, v39, v4, -v9
	v_fmac_f32_e32 v8, v38, v4
	;; [unrolled: 2-line block ×3, first 2 shown]
	s_waitcnt vmcnt(14)
	v_mul_f32_e32 v5, v40, v13
	v_mul_f32_e32 v2, v41, v13
	ds_write2_b64 v89, v[69:70], v[0:1] offset1:54
	ds_write2_b64 v89, v[8:9], v[3:4] offset0:108 offset1:162
	s_waitcnt vmcnt(13)
	v_mul_f32_e32 v0, v43, v23
	v_mul_f32_e32 v1, v42, v23
	v_fma_f32 v3, v41, v12, -v5
	s_waitcnt vmcnt(12)
	v_mul_f32_e32 v5, v44, v25
	v_mul_f32_e32 v4, v45, v25
	v_fmac_f32_e32 v2, v40, v12
	s_waitcnt vmcnt(11)
	v_mul_f32_e32 v6, v47, v27
	v_mul_f32_e32 v7, v46, v27
	v_fmac_f32_e32 v0, v42, v22
	v_fma_f32 v1, v43, v22, -v1
	v_fma_f32 v5, v45, v24, -v5
	v_fmac_f32_e32 v4, v44, v24
	v_fmac_f32_e32 v6, v46, v26
	v_fma_f32 v7, v47, v26, -v7
	ds_write2_b64 v71, v[2:3], v[0:1] offset0:88 offset1:142
	s_waitcnt vmcnt(10)
	v_mul_f32_e32 v8, v49, v29
	s_waitcnt vmcnt(9)
	v_mul_f32_e32 v0, v51, v15
	v_mul_f32_e32 v1, v50, v15
	;; [unrolled: 1-line block ×3, first 2 shown]
	ds_write2_b64 v72, v[4:5], v[6:7] offset0:68 offset1:122
	v_fmac_f32_e32 v8, v48, v28
	s_waitcnt vmcnt(8)
	v_mul_f32_e32 v2, v53, v31
	v_mul_f32_e32 v3, v52, v31
	v_fmac_f32_e32 v0, v50, v14
	v_fma_f32 v1, v51, v14, -v1
	v_fma_f32 v9, v49, v28, -v9
	s_waitcnt vmcnt(7)
	v_mul_f32_e32 v4, v55, v33
	v_mul_f32_e32 v5, v54, v33
	v_fmac_f32_e32 v2, v52, v30
	v_fma_f32 v3, v53, v30, -v3
	v_add_nc_u32_e32 v19, 0x1400, v89
	s_waitcnt vmcnt(6)
	v_mul_f32_e32 v6, v57, v35
	v_mul_f32_e32 v7, v56, v35
	v_fmac_f32_e32 v4, v54, v32
	v_fma_f32 v5, v55, v32, -v5
	s_waitcnt vmcnt(5)
	v_mul_f32_e32 v10, v59, v37
	v_mul_f32_e32 v11, v58, v37
	v_fmac_f32_e32 v6, v56, v34
	v_fma_f32 v7, v57, v34, -v7
	s_waitcnt vmcnt(4)
	v_mul_f32_e32 v12, v61, v17
	v_mul_f32_e32 v13, v60, v17
	v_fmac_f32_e32 v10, v58, v36
	s_waitcnt vmcnt(2)
	v_mul_f32_e32 v14, v64, v68
	v_mul_f32_e32 v15, v63, v68
	s_waitcnt vmcnt(0)
	v_mul_f32_e32 v17, v66, v21
	v_mul_f32_e32 v18, v65, v21
	v_fma_f32 v11, v59, v36, -v11
	v_fmac_f32_e32 v12, v60, v16
	v_fma_f32 v13, v61, v16, -v13
	v_fmac_f32_e32 v14, v63, v67
	;; [unrolled: 2-line block ×3, first 2 shown]
	v_fma_f32 v18, v66, v20, -v18
	ds_write2_b64 v72, v[8:9], v[0:1] offset0:176 offset1:230
	ds_write2_b64 v73, v[2:3], v[4:5] offset0:28 offset1:82
	;; [unrolled: 1-line block ×4, first 2 shown]
	ds_write_b64 v89, v[17:18] offset:6912
.LBB0_3:
	s_or_b32 exec_lo, exec_lo, s1
	s_clause 0x1
	s_load_dwordx2 s[0:1], s[4:5], 0x20
	s_load_dwordx2 s[2:3], s[4:5], 0x8
	v_mov_b32_e32 v12, 0
	v_mov_b32_e32 v13, 0
	s_waitcnt lgkmcnt(0)
	s_barrier
	buffer_gl0_inv
                                        ; implicit-def: $vgpr30
                                        ; implicit-def: $vgpr24
                                        ; implicit-def: $vgpr20
                                        ; implicit-def: $vgpr16
                                        ; implicit-def: $vgpr44
                                        ; implicit-def: $vgpr42
                                        ; implicit-def: $vgpr38
                                        ; implicit-def: $vgpr34
	s_and_saveexec_b32 s4, vcc_lo
	s_cbranch_execz .LBB0_5
; %bb.4:
	v_add_nc_u32_e32 v0, 0x400, v89
	v_add_nc_u32_e32 v1, 0x800, v89
	;; [unrolled: 1-line block ×3, first 2 shown]
	ds_read2_b64 v[12:15], v89 offset1:54
	ds_read2_b64 v[32:35], v89 offset0:108 offset1:162
	ds_read2_b64 v[36:39], v0 offset0:88 offset1:142
	v_add_nc_u32_e32 v0, 0x1400, v89
	ds_read2_b64 v[40:43], v1 offset0:68 offset1:122
	ds_read2_b64 v[28:31], v1 offset0:176 offset1:230
	;; [unrolled: 1-line block ×5, first 2 shown]
	ds_read_b64 v[44:45], v89 offset:6912
.LBB0_5:
	s_or_b32 exec_lo, exec_lo, s4
	s_waitcnt lgkmcnt(0)
	v_sub_f32_e32 v9, v15, v45
	v_add_f32_e32 v83, v44, v14
	v_sub_f32_e32 v8, v14, v44
	v_sub_f32_e32 v46, v33, v19
	v_add_f32_e32 v84, v45, v15
	v_mul_f32_e32 v49, 0xbeb8f4ab, v9
	v_add_f32_e32 v85, v18, v32
	v_sub_f32_e32 v11, v32, v18
	v_mul_f32_e32 v51, 0xbeb8f4ab, v8
	v_mul_f32_e32 v48, 0xbf2c7751, v46
	v_fmamk_f32 v0, v83, 0x3f6eb680, v49
	v_sub_f32_e32 v91, v35, v17
	v_add_f32_e32 v86, v19, v33
	v_mul_f32_e32 v50, 0xbf2c7751, v11
	v_fma_f32 v1, 0x3f6eb680, v84, -v51
	v_fmamk_f32 v2, v85, 0x3f3d2fb0, v48
	v_add_f32_e32 v0, v0, v12
	v_sub_f32_e32 v47, v34, v16
	v_add_f32_e32 v101, v16, v34
	v_mul_f32_e32 v52, 0xbf65296c, v91
	v_sub_f32_e32 v134, v37, v23
	v_fma_f32 v3, 0x3f3d2fb0, v86, -v50
	v_add_f32_e32 v1, v1, v13
	v_add_f32_e32 v0, v2, v0
	;; [unrolled: 1-line block ×3, first 2 shown]
	v_mul_f32_e32 v53, 0xbf65296c, v47
	v_fmamk_f32 v2, v101, 0x3ee437d1, v52
	v_sub_f32_e32 v135, v36, v22
	v_add_f32_e32 v97, v22, v36
	v_mul_f32_e32 v54, 0xbf7ee86f, v134
	v_sub_f32_e32 v136, v39, v21
	v_add_f32_e32 v1, v3, v1
	v_fma_f32 v3, 0x3ee437d1, v102, -v53
	v_add_f32_e32 v99, v23, v37
	v_mul_f32_e32 v55, 0xbf7ee86f, v135
	v_add_f32_e32 v0, v2, v0
	v_fmamk_f32 v2, v97, 0x3dbcf732, v54
	v_add_f32_e32 v100, v20, v38
	v_mul_f32_e32 v56, 0xbf763a35, v136
	v_sub_f32_e32 v137, v38, v20
	v_sub_f32_e32 v146, v41, v27
	v_add_f32_e32 v1, v3, v1
	v_fma_f32 v3, 0x3dbcf732, v99, -v55
	v_add_f32_e32 v0, v2, v0
	v_fmamk_f32 v2, v100, 0xbe8c1d8e, v56
	v_add_f32_e32 v112, v21, v39
	v_mul_f32_e32 v58, 0xbf763a35, v137
	v_add_f32_e32 v103, v26, v40
	v_mul_f32_e32 v57, 0xbf4c4adb, v146
	v_sub_f32_e32 v147, v40, v26
	v_sub_f32_e32 v154, v43, v25
	v_add_f32_e32 v1, v3, v1
	v_add_f32_e32 v0, v2, v0
	v_fma_f32 v2, 0xbe8c1d8e, v112, -v58
	v_fmamk_f32 v3, v103, 0xbf1a4643, v57
	v_add_f32_e32 v115, v27, v41
	v_mul_f32_e32 v60, 0xbf4c4adb, v147
	v_add_f32_e32 v104, v24, v42
	v_mul_f32_e32 v59, 0xbf06c442, v154
	v_sub_f32_e32 v156, v42, v24
	v_add_f32_e32 v1, v2, v1
	v_fma_f32 v2, 0xbf1a4643, v115, -v60
	v_add_f32_e32 v0, v3, v0
	v_fmamk_f32 v3, v104, 0xbf59a7d5, v59
	v_add_f32_e32 v107, v25, v43
	v_mul_f32_e32 v61, 0xbf06c442, v156
	v_sub_f32_e32 v164, v29, v31
	v_mul_f32_e32 v71, 0xbf2c7751, v9
	v_add_f32_e32 v1, v2, v1
	v_add_f32_e32 v0, v3, v0
	v_fma_f32 v2, 0xbf59a7d5, v107, -v61
	v_add_f32_e32 v116, v30, v28
	v_mul_f32_e32 v65, 0xbe3c28d5, v164
	v_fmamk_f32 v3, v83, 0x3f3d2fb0, v71
	v_mul_f32_e32 v72, 0xbf7ee86f, v46
	v_mul_f32_e32 v79, 0xbf2c7751, v8
	v_add_f32_e32 v1, v2, v1
	v_fmamk_f32 v2, v116, 0xbf7ba420, v65
	v_add_f32_e32 v3, v3, v12
	v_fmamk_f32 v4, v85, 0x3dbcf732, v72
	v_fma_f32 v5, 0x3f3d2fb0, v84, -v79
	v_mul_f32_e32 v81, 0xbf7ee86f, v11
	v_mul_f32_e32 v73, 0xbf4c4adb, v91
	v_add_f32_e32 v63, v2, v0
	v_add_f32_e32 v0, v4, v3
	;; [unrolled: 1-line block ×3, first 2 shown]
	v_fma_f32 v3, 0x3dbcf732, v86, -v81
	v_fmamk_f32 v4, v101, 0xbf1a4643, v73
	v_mul_f32_e32 v77, 0xbf4c4adb, v47
	v_mul_f32_e32 v75, 0xbe3c28d5, v134
	;; [unrolled: 1-line block ×3, first 2 shown]
	v_add_f32_e32 v2, v3, v2
	v_add_f32_e32 v0, v4, v0
	v_fma_f32 v3, 0xbf1a4643, v102, -v77
	v_fmamk_f32 v4, v97, 0xbf7ba420, v75
	v_mul_f32_e32 v76, 0x3f06c442, v136
	v_mul_f32_e32 v80, 0x3f06c442, v137
	;; [unrolled: 1-line block ×3, first 2 shown]
	v_add_f32_e32 v2, v3, v2
	v_add_f32_e32 v0, v4, v0
	v_fma_f32 v3, 0xbf7ba420, v99, -v78
	v_fmamk_f32 v4, v100, 0xbf59a7d5, v76
	v_sub_f32_e32 v167, v28, v30
	v_mul_f32_e32 v82, 0x3f763a35, v147
	v_mul_f32_e32 v94, 0xbf65296c, v9
	v_add_f32_e32 v2, v3, v2
	v_fma_f32 v3, 0xbf59a7d5, v112, -v80
	v_add_f32_e32 v0, v4, v0
	v_fmamk_f32 v4, v103, 0xbe8c1d8e, v67
	v_add_f32_e32 v118, v31, v29
	v_mul_f32_e32 v66, 0xbe3c28d5, v167
	v_add_f32_e32 v2, v3, v2
	v_fma_f32 v3, 0xbe8c1d8e, v115, -v82
	v_add_f32_e32 v0, v4, v0
	v_mul_f32_e32 v68, 0x3f65296c, v154
	v_mul_f32_e32 v70, 0x3f65296c, v156
	v_fmamk_f32 v4, v83, 0x3ee437d1, v94
	v_mul_f32_e32 v95, 0xbf4c4adb, v46
	v_fma_f32 v5, 0xbf7ba420, v118, -v66
	v_add_f32_e32 v2, v3, v2
	v_fmamk_f32 v3, v104, 0x3ee437d1, v68
	v_fma_f32 v6, 0x3ee437d1, v107, -v70
	v_add_f32_e32 v4, v4, v12
	v_fmamk_f32 v7, v85, 0xbf1a4643, v95
	v_mul_f32_e32 v96, 0x3e3c28d5, v91
	v_mul_f32_e32 v106, 0xbf65296c, v8
	v_add_f32_e32 v64, v5, v1
	v_add_f32_e32 v0, v3, v0
	;; [unrolled: 1-line block ×4, first 2 shown]
	v_fmamk_f32 v3, v101, 0xbf7ba420, v96
	v_mul_f32_e32 v87, 0x3f763a35, v134
	v_fma_f32 v5, 0x3ee437d1, v84, -v106
	v_mul_f32_e32 v108, 0xbf4c4adb, v11
	v_mul_f32_e32 v88, 0x3f2c7751, v136
	v_add_f32_e32 v2, v3, v2
	v_fmamk_f32 v3, v97, 0xbe8c1d8e, v87
	v_add_f32_e32 v5, v5, v13
	v_fma_f32 v6, 0xbf1a4643, v86, -v108
	v_mul_f32_e32 v109, 0x3e3c28d5, v47
	v_mul_f32_e32 v69, 0x3eb8f4ab, v164
	v_add_f32_e32 v2, v3, v2
	v_fmamk_f32 v3, v100, 0x3f3d2fb0, v88
	v_mul_f32_e32 v92, 0xbeb8f4ab, v146
	v_add_f32_e32 v5, v6, v5
	v_fma_f32 v6, 0xbf7ba420, v102, -v109
	v_mul_f32_e32 v110, 0x3f763a35, v135
	v_mul_f32_e32 v74, 0x3eb8f4ab, v167
	v_fmamk_f32 v4, v116, 0x3f6eb680, v69
	v_add_f32_e32 v2, v3, v2
	v_fmamk_f32 v3, v103, 0x3f6eb680, v92
	v_mul_f32_e32 v93, 0xbf7ee86f, v154
	v_add_f32_e32 v5, v6, v5
	v_fma_f32 v6, 0xbe8c1d8e, v99, -v110
	v_mul_f32_e32 v111, 0x3f2c7751, v137
	v_fma_f32 v7, 0x3f6eb680, v118, -v74
	v_add_f32_e32 v3, v3, v2
	v_fmamk_f32 v10, v104, 0x3dbcf732, v93
	v_add_f32_e32 v2, v4, v0
	v_mul_f32_e32 v98, 0xbf06c442, v164
	v_add_f32_e32 v4, v6, v5
	v_fma_f32 v5, 0x3f3d2fb0, v112, -v111
	v_mul_f32_e32 v105, 0xbeb8f4ab, v147
	v_mul_f32_e32 v120, 0xbf7ee86f, v9
	v_add_f32_e32 v0, v10, v3
	v_fmamk_f32 v6, v116, 0xbf59a7d5, v98
	v_add_f32_e32 v3, v7, v1
	v_add_f32_e32 v1, v5, v4
	v_fma_f32 v4, 0x3f6eb680, v115, -v105
	v_fmamk_f32 v5, v83, 0x3dbcf732, v120
	v_mul_f32_e32 v121, 0xbe3c28d5, v46
	v_mul_f32_e32 v129, 0xbf7ee86f, v8
	v_add_f32_e32 v0, v6, v0
	v_add_f32_e32 v1, v4, v1
	v_mul_f32_e32 v113, 0xbf7ee86f, v156
	v_add_f32_e32 v4, v5, v12
	v_fmamk_f32 v5, v85, 0xbf7ba420, v121
	v_fma_f32 v6, 0x3dbcf732, v84, -v129
	v_mul_f32_e32 v130, 0xbe3c28d5, v11
	v_mul_f32_e32 v117, 0x3f763a35, v91
	v_fma_f32 v7, 0x3dbcf732, v107, -v113
	v_add_f32_e32 v4, v5, v4
	v_add_f32_e32 v5, v6, v13
	v_fma_f32 v6, 0xbf7ba420, v86, -v130
	v_fmamk_f32 v10, v101, 0xbe8c1d8e, v117
	v_mul_f32_e32 v131, 0x3f763a35, v47
	v_mul_f32_e32 v119, 0x3eb8f4ab, v134
	v_add_f32_e32 v1, v7, v1
	v_add_f32_e32 v5, v6, v5
	;; [unrolled: 1-line block ×3, first 2 shown]
	v_fma_f32 v6, 0xbe8c1d8e, v102, -v131
	v_fmamk_f32 v7, v97, 0x3f6eb680, v119
	v_mul_f32_e32 v128, 0x3eb8f4ab, v135
	v_mul_f32_e32 v122, 0xbf65296c, v136
	;; [unrolled: 1-line block ×3, first 2 shown]
	v_add_f32_e32 v5, v6, v5
	v_add_f32_e32 v4, v7, v4
	v_fma_f32 v6, 0x3f6eb680, v99, -v128
	v_fmamk_f32 v7, v100, 0x3ee437d1, v122
	v_mul_f32_e32 v123, 0xbf06c442, v146
	v_mul_f32_e32 v127, 0xbf06c442, v147
	;; [unrolled: 1-line block ×3, first 2 shown]
	v_add_f32_e32 v5, v6, v5
	v_fma_f32 v6, 0x3ee437d1, v112, -v125
	v_add_f32_e32 v4, v7, v4
	v_fmamk_f32 v7, v103, 0xbf59a7d5, v123
	v_mul_f32_e32 v124, 0x3f4c4adb, v154
	v_mul_f32_e32 v140, 0x3f06c442, v46
	v_add_f32_e32 v5, v6, v5
	v_fma_f32 v6, 0xbf59a7d5, v115, -v127
	v_add_f32_e32 v4, v7, v4
	v_fmamk_f32 v7, v83, 0xbe8c1d8e, v139
	v_fmamk_f32 v133, v85, 0xbf59a7d5, v140
	v_mul_f32_e32 v141, 0x3f2c7751, v91
	v_add_f32_e32 v5, v6, v5
	v_fmamk_f32 v6, v104, 0xbf1a4643, v124
	v_add_f32_e32 v7, v7, v12
	v_mul_f32_e32 v142, 0xbf65296c, v134
	v_mul_f32_e32 v151, 0xbf763a35, v8
	;; [unrolled: 1-line block ×3, first 2 shown]
	v_add_f32_e32 v4, v6, v4
	v_add_f32_e32 v6, v133, v7
	v_fmamk_f32 v7, v101, 0x3f3d2fb0, v141
	v_mul_f32_e32 v145, 0xbe3c28d5, v136
	v_fma_f32 v138, 0xbe8c1d8e, v84, -v151
	v_mul_f32_e32 v152, 0x3f06c442, v11
	v_fma_f32 v10, 0xbf59a7d5, v118, -v114
	v_add_f32_e32 v6, v7, v6
	v_fmamk_f32 v7, v97, 0x3ee437d1, v142
	v_mul_f32_e32 v132, 0x3f4c4adb, v156
	v_mul_f32_e32 v143, 0x3f7ee86f, v146
	v_add_f32_e32 v138, v138, v13
	v_fma_f32 v149, 0xbf59a7d5, v86, -v152
	v_add_f32_e32 v6, v7, v6
	v_fmamk_f32 v7, v100, 0xbf7ba420, v145
	v_mul_f32_e32 v148, 0x3f2c7751, v47
	v_add_f32_e32 v1, v10, v1
	v_fma_f32 v10, 0xbf1a4643, v107, -v132
	v_mul_f32_e32 v126, 0x3f2c7751, v164
	v_add_f32_e32 v6, v7, v6
	v_fmamk_f32 v7, v103, 0x3dbcf732, v143
	v_mul_f32_e32 v144, 0xbeb8f4ab, v154
	v_add_f32_e32 v150, v149, v138
	v_fma_f32 v155, 0x3f3d2fb0, v102, -v148
	v_mul_f32_e32 v149, 0xbf65296c, v135
	v_add_f32_e32 v5, v10, v5
	v_mul_f32_e32 v133, 0x3f2c7751, v167
	v_fmamk_f32 v10, v116, 0x3f3d2fb0, v126
	v_add_f32_e32 v7, v7, v6
	v_fmamk_f32 v157, v104, 0x3f6eb680, v144
	v_mul_f32_e32 v138, 0xbf4c4adb, v164
	v_add_f32_e32 v155, v155, v150
	v_fma_f32 v158, 0x3ee437d1, v99, -v149
	v_mul_f32_e32 v150, 0xbe3c28d5, v137
	v_fma_f32 v153, 0x3f3d2fb0, v118, -v133
	v_add_f32_e32 v6, v10, v4
	v_add_f32_e32 v4, v157, v7
	v_fmamk_f32 v10, v116, 0xbf1a4643, v138
	v_add_f32_e32 v155, v158, v155
	v_fma_f32 v157, 0xbf7ba420, v112, -v150
	v_mul_f32_e32 v161, 0xbf4c4adb, v9
	v_mul_f32_e32 v168, 0xbf4c4adb, v8
	v_add_f32_e32 v7, v153, v5
	v_add_f32_e32 v4, v10, v4
	;; [unrolled: 1-line block ×3, first 2 shown]
	v_mul_f32_e32 v153, 0x3f7ee86f, v147
	v_fmamk_f32 v10, v83, 0xbf1a4643, v161
	v_mul_f32_e32 v163, 0x3f763a35, v46
	v_fma_f32 v155, 0xbf1a4643, v84, -v168
	v_mul_f32_e32 v169, 0x3f763a35, v11
	v_fma_f32 v157, 0x3dbcf732, v115, -v153
	v_add_f32_e32 v10, v10, v12
	v_fmamk_f32 v158, v85, 0xbe8c1d8e, v163
	v_add_f32_e32 v155, v155, v13
	v_fma_f32 v159, 0xbe8c1d8e, v86, -v169
	v_mul_f32_e32 v160, 0xbeb8f4ab, v91
	v_mul_f32_e32 v170, 0xbeb8f4ab, v47
	v_add_f32_e32 v5, v157, v5
	v_add_f32_e32 v10, v158, v10
	;; [unrolled: 1-line block ×3, first 2 shown]
	v_fmamk_f32 v159, v101, 0x3f6eb680, v160
	v_fma_f32 v162, 0x3f6eb680, v102, -v170
	v_mul_f32_e32 v157, 0xbf06c442, v134
	v_mul_f32_e32 v171, 0xbf06c442, v135
	v_mul_f32_e32 v172, 0x3f7ee86f, v137
	v_add_f32_e32 v10, v159, v10
	v_add_f32_e32 v159, v162, v158
	v_fmamk_f32 v162, v97, 0xbf59a7d5, v157
	v_fma_f32 v165, 0xbf59a7d5, v99, -v171
	v_mul_f32_e32 v158, 0x3f7ee86f, v136
	v_fma_f32 v174, 0x3dbcf732, v112, -v172
	v_mul_f32_e32 v155, 0xbeb8f4ab, v156
	v_add_f32_e32 v10, v162, v10
	v_add_f32_e32 v162, v165, v159
	v_fmamk_f32 v165, v100, 0x3dbcf732, v158
	v_mul_f32_e32 v159, 0xbf2c7751, v146
	v_mul_f32_e32 v173, 0xbf2c7751, v147
	v_mul_f32_e32 v179, 0xbf06c442, v9
	v_fma_f32 v166, 0x3f6eb680, v107, -v155
	v_add_f32_e32 v10, v165, v10
	v_add_f32_e32 v165, v174, v162
	v_fmamk_f32 v174, v103, 0x3f3d2fb0, v159
	v_fma_f32 v176, 0x3f3d2fb0, v115, -v173
	v_mul_f32_e32 v183, 0x3f65296c, v46
	v_add_f32_e32 v5, v166, v5
	v_mul_f32_e32 v166, 0xbe3c28d5, v154
	v_add_f32_e32 v10, v174, v10
	v_fmamk_f32 v174, v83, 0xbf59a7d5, v179
	v_mul_f32_e32 v175, 0xbe3c28d5, v156
	v_add_f32_e32 v177, v176, v165
	v_fmamk_f32 v182, v85, 0x3ee437d1, v183
	;; [unrolled: 3-line block ×3, first 2 shown]
	v_fma_f32 v180, 0xbf7ba420, v107, -v175
	v_mul_f32_e32 v187, 0xbf06c442, v8
	v_fmamk_f32 v185, v101, 0x3dbcf732, v181
	v_add_f32_e32 v182, v182, v176
	v_mul_f32_e32 v176, 0x3f4c4adb, v134
	v_add_f32_e32 v10, v178, v10
	v_add_f32_e32 v203, v180, v177
	v_fma_f32 v180, 0xbf59a7d5, v84, -v187
	v_add_f32_e32 v177, v185, v182
	v_fmamk_f32 v178, v97, 0xbf1a4643, v176
	v_mul_f32_e32 v182, 0xbeb8f4ab, v136
	v_mul_f32_e32 v189, 0x3f65296c, v11
	;; [unrolled: 1-line block ×3, first 2 shown]
	v_add_f32_e32 v180, v180, v13
	v_add_f32_e32 v178, v178, v177
	v_fmamk_f32 v186, v100, 0x3f6eb680, v182
	v_mul_f32_e32 v177, 0xbe3c28d5, v146
	v_fma_f32 v190, 0x3ee437d1, v86, -v189
	v_mul_f32_e32 v188, 0xbf7ee86f, v47
	v_mul_f32_e32 v165, 0x3f65296c, v164
	v_fma_f32 v184, 0xbf1a4643, v118, -v162
	v_add_f32_e32 v178, v186, v178
	v_fmamk_f32 v191, v103, 0xbf7ba420, v177
	v_add_f32_e32 v190, v190, v180
	v_fma_f32 v192, 0x3dbcf732, v102, -v188
	v_mul_f32_e32 v186, 0x3f4c4adb, v135
	v_mul_f32_e32 v180, 0x3f2c7751, v154
	v_fmamk_f32 v185, v116, 0x3ee437d1, v165
	v_add_f32_e32 v5, v184, v5
	v_add_f32_e32 v191, v191, v178
	;; [unrolled: 1-line block ×3, first 2 shown]
	v_fma_f32 v192, 0xbf1a4643, v99, -v186
	v_mul_f32_e32 v184, 0xbeb8f4ab, v137
	v_fmamk_f32 v193, v104, 0x3f3d2fb0, v180
	v_add_f32_e32 v10, v185, v10
	v_mul_f32_e32 v197, 0xbe3c28d5, v8
	v_add_f32_e32 v185, v192, v190
	v_fma_f32 v190, 0x3f6eb680, v112, -v184
	v_add_f32_e32 v205, v193, v191
	v_mul_f32_e32 v191, 0xbe3c28d5, v9
	v_mul_f32_e32 v192, 0x3eb8f4ab, v46
	v_fma_f32 v46, 0xbf7ba420, v84, -v197
	v_add_f32_e32 v8, v190, v185
	v_mul_f32_e32 v190, 0xbe3c28d5, v147
	v_fmamk_f32 v185, v83, 0xbf7ba420, v191
	v_mul_f32_e32 v198, 0x3eb8f4ab, v11
	v_fmamk_f32 v194, v85, 0x3f6eb680, v192
	v_add_f32_e32 v46, v46, v13
	v_fma_f32 v11, 0xbf7ba420, v115, -v190
	v_add_f32_e32 v185, v185, v12
	v_fma_f32 v195, 0x3f6eb680, v86, -v198
	v_mul_f32_e32 v193, 0xbf06c442, v91
	v_mul_f32_e32 v201, 0xbf06c442, v47
	v_add_f32_e32 v8, v11, v8
	v_add_f32_e32 v11, v194, v185
	;; [unrolled: 1-line block ×3, first 2 shown]
	v_fmamk_f32 v47, v101, 0xbf59a7d5, v193
	v_fma_f32 v91, 0xbf59a7d5, v102, -v201
	v_mul_f32_e32 v195, 0x3f2c7751, v134
	v_mul_f32_e32 v202, 0x3f2c7751, v135
	v_mul_f32_e32 v185, 0x3f2c7751, v156
	v_add_f32_e32 v11, v47, v11
	v_add_f32_e32 v46, v91, v46
	v_fmamk_f32 v47, v97, 0x3f3d2fb0, v195
	v_fma_f32 v91, 0x3f3d2fb0, v99, -v202
	v_mul_f32_e32 v196, 0xbf4c4adb, v136
	v_mul_f32_e32 v200, 0xbf4c4adb, v137
	v_fma_f32 v134, 0x3f3d2fb0, v107, -v185
	v_add_f32_e32 v11, v47, v11
	v_add_f32_e32 v46, v91, v46
	v_fmamk_f32 v47, v100, 0xbf1a4643, v196
	v_fma_f32 v91, 0xbf1a4643, v112, -v200
	v_mul_f32_e32 v194, 0x3f65296c, v146
	v_mul_f32_e32 v199, 0x3f65296c, v147
	v_add_f32_e32 v134, v134, v8
	v_add_f32_e32 v8, v47, v11
	;; [unrolled: 1-line block ×3, first 2 shown]
	v_fmamk_f32 v46, v103, 0x3ee437d1, v194
	v_fma_f32 v47, 0x3ee437d1, v115, -v199
	v_mul_f32_e32 v137, 0xbf763a35, v154
	v_mul_f32_e32 v154, 0xbf763a35, v156
	;; [unrolled: 1-line block ×5, first 2 shown]
	v_add_f32_e32 v8, v46, v8
	v_add_f32_e32 v11, v47, v11
	v_fmamk_f32 v46, v104, 0xbe8c1d8e, v137
	v_fma_f32 v47, 0xbe8c1d8e, v107, -v154
	v_mul_f32_e32 v146, 0x3f7ee86f, v164
	v_mul_f32_e32 v147, 0x3f7ee86f, v167
	v_fma_f32 v204, 0x3ee437d1, v118, -v174
	v_fmamk_f32 v9, v116, 0xbe8c1d8e, v178
	v_fma_f32 v91, 0xbe8c1d8e, v118, -v136
	v_add_f32_e32 v46, v46, v8
	v_add_f32_e32 v47, v47, v11
	v_fmamk_f32 v135, v116, 0x3dbcf732, v146
	v_fma_f32 v156, 0x3dbcf732, v118, -v147
	v_add_f32_e32 v11, v204, v203
	v_add_f32_e32 v8, v9, v205
	;; [unrolled: 1-line block ×5, first 2 shown]
	v_mul_lo_u16 v91, v90, 17
	s_barrier
	buffer_gl0_inv
	s_and_saveexec_b32 s4, vcc_lo
	s_cbranch_execz .LBB0_7
; %bb.6:
	v_mul_f32_e32 v213, 0xbf7ba420, v84
	v_mul_f32_e32 v227, 0x3f6eb680, v86
	;; [unrolled: 1-line block ×5, first 2 shown]
	v_add_f32_e32 v197, v197, v213
	v_add_f32_e32 v198, v198, v227
	v_mul_f32_e32 v203, 0x3ee437d1, v84
	v_mul_f32_e32 v205, 0x3dbcf732, v84
	;; [unrolled: 1-line block ×3, first 2 shown]
	v_add_f32_e32 v197, v197, v13
	v_mul_f32_e32 v209, 0xbf1a4643, v84
	v_mul_f32_e32 v211, 0xbf59a7d5, v84
	;; [unrolled: 1-line block ×25, first 2 shown]
	v_add_f32_e32 v197, v198, v197
	v_add_f32_e32 v198, v201, v241
	v_mul_f32_e32 v226, 0x3f6eb680, v85
	v_sub_f32_e32 v191, v212, v191
	v_add_f32_e32 v99, v202, v99
	v_mul_f32_e32 v202, 0xbf1a4643, v112
	v_add_f32_e32 v197, v198, v197
	v_mul_f32_e32 v240, 0xbf59a7d5, v101
	v_add_f32_e32 v191, v191, v12
	v_sub_f32_e32 v192, v226, v192
	v_add_f32_e32 v200, v200, v202
	v_add_f32_e32 v99, v99, v197
	v_mul_f32_e32 v134, 0x3f6eb680, v83
	v_mul_f32_e32 v156, 0x3f3d2fb0, v83
	;; [unrolled: 1-line block ×29, first 2 shown]
	v_add_f32_e32 v99, v200, v99
	v_mul_f32_e32 v200, 0x3ee437d1, v115
	v_add_f32_e32 v191, v192, v191
	v_sub_f32_e32 v193, v240, v193
	v_mul_f32_e32 v252, 0xbe8c1d8e, v100
	v_mul_f32_e32 v241, 0xbf59a7d5, v100
	;; [unrolled: 1-line block ×6, first 2 shown]
	v_add_f32_e32 v199, v199, v200
	v_mul_f32_e32 v200, 0x3f6eb680, v100
	v_mul_f32_e32 v100, 0xbf1a4643, v100
	v_add_f32_e32 v191, v193, v191
	v_mul_f32_e32 v193, 0xbe8c1d8e, v107
	v_sub_f32_e32 v97, v97, v195
	v_add_f32_e32 v99, v199, v99
	v_sub_f32_e32 v100, v100, v196
	v_add_f32_e32 v189, v189, v225
	v_add_f32_e32 v154, v154, v193
	;; [unrolled: 1-line block ×7, first 2 shown]
	v_mul_f32_e32 v154, 0x3ee437d1, v103
	v_add_f32_e32 v97, v100, v97
	v_add_f32_e32 v100, v187, v211
	v_mul_f32_e32 v201, 0xbe8c1d8e, v112
	v_mul_f32_e32 v253, 0xbf59a7d5, v112
	v_sub_f32_e32 v154, v154, v194
	v_mul_f32_e32 v198, 0x3f3d2fb0, v112
	v_add_f32_e32 v100, v100, v13
	v_mul_f32_e32 v197, 0x3ee437d1, v112
	v_mul_f32_e32 v226, 0xbf7ba420, v112
	v_add_f32_e32 v97, v154, v97
	v_mul_f32_e32 v154, 0xbe8c1d8e, v104
	v_add_f32_e32 v100, v189, v100
	v_mul_f32_e32 v240, 0x3dbcf732, v112
	v_mul_f32_e32 v112, 0x3f6eb680, v112
	v_sub_f32_e32 v183, v224, v183
	v_sub_f32_e32 v137, v154, v137
	v_add_f32_e32 v100, v188, v100
	v_add_f32_e32 v106, v106, v13
	;; [unrolled: 1-line block ×3, first 2 shown]
	v_mul_f32_e32 v199, 0xbf1a4643, v115
	v_add_f32_e32 v137, v137, v97
	v_add_f32_e32 v97, v186, v100
	v_sub_f32_e32 v100, v210, v179
	v_mul_f32_e32 v191, 0xbe8c1d8e, v115
	v_mul_f32_e32 v255, 0x3f6eb680, v115
	;; [unrolled: 1-line block ×4, first 2 shown]
	v_add_f32_e32 v100, v100, v12
	v_mul_f32_e32 v154, 0x3f3d2fb0, v115
	v_mul_f32_e32 v115, 0xbf7ba420, v115
	v_add_f32_e32 v112, v184, v112
	v_sub_f32_e32 v181, v238, v181
	v_add_f32_e32 v100, v183, v100
	v_add_f32_e32 v106, v108, v106
	;; [unrolled: 1-line block ×6, first 2 shown]
	v_sub_f32_e32 v176, v251, v176
	v_add_f32_e32 v108, v108, v106
	v_add_f32_e32 v110, v110, v245
	v_mul_f32_e32 v187, 0x3dbcf732, v118
	v_mul_f32_e32 v239, 0xbf59a7d5, v107
	;; [unrolled: 1-line block ×6, first 2 shown]
	v_add_f32_e32 v115, v115, v97
	v_mul_f32_e32 v238, 0xbf7ba420, v107
	v_mul_f32_e32 v97, 0x3f3d2fb0, v107
	v_add_f32_e32 v107, v168, v209
	v_add_f32_e32 v100, v176, v100
	v_sub_f32_e32 v182, v200, v182
	v_add_f32_e32 v108, v110, v108
	v_add_f32_e32 v110, v111, v198
	v_sub_f32_e32 v94, v167, v94
	v_mul_f32_e32 v195, 0xbf1a4643, v103
	v_mul_f32_e32 v193, 0xbe8c1d8e, v103
	;; [unrolled: 1-line block ×4, first 2 shown]
	v_add_f32_e32 v147, v147, v187
	v_mul_f32_e32 v187, 0x3dbcf732, v103
	v_mul_f32_e32 v225, 0x3f3d2fb0, v103
	;; [unrolled: 1-line block ×5, first 2 shown]
	v_add_f32_e32 v169, v169, v223
	v_mul_f32_e32 v223, 0x3f6eb680, v118
	v_add_f32_e32 v107, v107, v13
	v_mul_f32_e32 v200, 0xbf59a7d5, v118
	;; [unrolled: 2-line block ×3, first 2 shown]
	v_add_f32_e32 v185, v185, v97
	v_add_f32_e32 v100, v182, v100
	v_mul_f32_e32 v182, 0xbf1a4643, v118
	v_add_f32_e32 v171, v171, v250
	v_mul_f32_e32 v250, 0x3ee437d1, v118
	v_mul_f32_e32 v118, 0xbe8c1d8e, v118
	v_add_f32_e32 v108, v110, v108
	v_add_f32_e32 v110, v94, v12
	v_sub_f32_e32 v95, v216, v95
	v_mul_f32_e32 v227, 0xbf59a7d5, v104
	v_sub_f32_e32 v146, v188, v146
	v_mul_f32_e32 v188, 0x3ee437d1, v104
	v_mul_f32_e32 v179, 0x3dbcf732, v104
	;; [unrolled: 1-line block ×6, first 2 shown]
	v_add_f32_e32 v107, v169, v107
	v_add_f32_e32 v97, v147, v99
	v_sub_f32_e32 v99, v103, v177
	v_add_f32_e32 v115, v185, v115
	v_add_f32_e32 v118, v136, v118
	;; [unrolled: 1-line block ×3, first 2 shown]
	v_sub_f32_e32 v96, v230, v96
	v_add_f32_e32 v79, v79, v164
	v_mul_f32_e32 v181, 0xbf7ba420, v116
	v_mul_f32_e32 v209, 0x3f6eb680, v116
	;; [unrolled: 1-line block ×5, first 2 shown]
	v_add_f32_e32 v107, v170, v107
	v_mul_f32_e32 v170, 0x3ee437d1, v116
	v_mul_f32_e32 v116, 0xbe8c1d8e, v116
	v_add_f32_e32 v99, v99, v100
	v_sub_f32_e32 v104, v104, v180
	v_add_f32_e32 v100, v118, v115
	v_sub_f32_e32 v115, v208, v161
	v_add_f32_e32 v95, v96, v95
	v_add_f32_e32 v96, v79, v13
	;; [unrolled: 1-line block ×3, first 2 shown]
	v_sub_f32_e32 v71, v156, v71
	v_add_f32_e32 v99, v104, v99
	v_sub_f32_e32 v104, v116, v178
	v_add_f32_e32 v115, v115, v12
	;; [unrolled: 2-line block ×3, first 2 shown]
	v_add_f32_e32 v77, v77, v229
	v_add_f32_e32 v71, v71, v12
	v_sub_f32_e32 v72, v214, v72
	v_add_f32_e32 v103, v171, v107
	v_add_f32_e32 v107, v172, v240
	v_add_f32_e32 v115, v116, v115
	v_sub_f32_e32 v116, v236, v160
	v_add_f32_e32 v77, v77, v81
	;; [unrolled: 4-line block ×5, first 2 shown]
	v_add_f32_e32 v14, v14, v12
	v_add_f32_e32 v103, v107, v103
	;; [unrolled: 1-line block ×6, first 2 shown]
	v_sub_f32_e32 v116, v192, v158
	v_add_f32_e32 v77, v78, v77
	v_add_f32_e32 v78, v82, v191
	;; [unrolled: 1-line block ×3, first 2 shown]
	v_sub_f32_e32 v72, v241, v76
	v_add_f32_e32 v15, v33, v15
	v_add_f32_e32 v14, v32, v14
	;; [unrolled: 1-line block ×7, first 2 shown]
	v_sub_f32_e32 v116, v225, v159
	v_add_f32_e32 v76, v78, v77
	v_add_f32_e32 v70, v70, v186
	v_add_f32_e32 v71, v72, v71
	v_sub_f32_e32 v32, v193, v67
	v_add_f32_e32 v15, v35, v15
	v_add_f32_e32 v14, v34, v14
	v_add_f32_e32 v103, v107, v103
	;; [unrolled: 4-line block ×6, first 2 shown]
	v_add_f32_e32 v116, v129, v205
	v_add_f32_e32 v14, v67, v33
	;; [unrolled: 1-line block ×7, first 2 shown]
	v_sub_f32_e32 v136, v234, v141
	v_add_f32_e32 v104, v118, v104
	v_add_f32_e32 v118, v150, v226
	;; [unrolled: 1-line block ×7, first 2 shown]
	v_sub_f32_e32 v136, v248, v142
	v_add_f32_e32 v104, v118, v104
	v_add_f32_e32 v118, v153, v189
	;; [unrolled: 1-line block ×5, first 2 shown]
	v_sub_f32_e32 v136, v202, v145
	v_add_f32_e32 v104, v118, v104
	v_add_f32_e32 v118, v155, v183
	;; [unrolled: 1-line block ×3, first 2 shown]
	v_sub_f32_e32 v120, v204, v120
	v_sub_f32_e32 v36, v134, v49
	v_add_f32_e32 v15, v29, v15
	v_add_f32_e32 v28, v28, v33
	;; [unrolled: 1-line block ×3, first 2 shown]
	v_sub_f32_e32 v129, v187, v143
	v_add_f32_e32 v104, v118, v104
	v_add_f32_e32 v118, v162, v182
	;; [unrolled: 1-line block ×7, first 2 shown]
	v_sub_f32_e32 v36, v83, v48
	v_add_f32_e32 v15, v31, v15
	v_add_f32_e32 v28, v30, v28
	;; [unrolled: 1-line block ×6, first 2 shown]
	v_sub_f32_e32 v121, v218, v121
	v_add_f32_e32 v13, v34, v13
	v_add_f32_e32 v34, v53, v86
	;; [unrolled: 1-line block ×3, first 2 shown]
	v_sub_f32_e32 v29, v85, v52
	v_add_f32_e32 v15, v25, v15
	v_add_f32_e32 v24, v24, v28
	;; [unrolled: 1-line block ×5, first 2 shown]
	v_sub_f32_e32 v117, v232, v117
	v_add_f32_e32 v13, v34, v13
	v_add_f32_e32 v33, v55, v102
	;; [unrolled: 1-line block ×3, first 2 shown]
	v_sub_f32_e32 v29, v101, v54
	v_add_f32_e32 v15, v27, v15
	v_add_f32_e32 v24, v26, v24
	v_sub_f32_e32 v87, v244, v87
	v_sub_f32_e32 v136, v190, v144
	v_add_f32_e32 v116, v118, v116
	v_add_f32_e32 v118, v127, v211
	v_add_f32_e32 v117, v117, v120
	v_sub_f32_e32 v119, v246, v119
	v_add_f32_e32 v13, v33, v13
	v_add_f32_e32 v25, v58, v201
	v_add_f32_e32 v12, v29, v12
	;; [unrolled: 4-line block ×3, first 2 shown]
	v_sub_f32_e32 v88, v254, v88
	v_add_f32_e32 v104, v136, v129
	v_sub_f32_e32 v128, v251, v138
	v_add_f32_e32 v109, v118, v116
	v_add_f32_e32 v112, v132, v112
	v_add_f32_e32 v116, v119, v117
	v_sub_f32_e32 v117, v212, v122
	v_add_f32_e32 v13, v25, v13
	v_add_f32_e32 v25, v60, v199
	v_add_f32_e32 v12, v28, v12
	v_sub_f32_e32 v21, v195, v57
	v_add_f32_e32 v15, v23, v15
	v_add_f32_e32 v20, v22, v20
	v_add_f32_e32 v105, v105, v255
	v_add_f32_e32 v87, v88, v87
	v_sub_f32_e32 v88, v196, v92
	v_add_f32_e32 v106, v128, v104
	v_add_f32_e32 v104, v112, v109
	v_add_f32_e32 v109, v117, v116
	v_sub_f32_e32 v112, v194, v123
	v_add_f32_e32 v13, v25, v13
	;; [unrolled: 4-line block ×3, first 2 shown]
	v_add_f32_e32 v16, v16, v20
	v_add_f32_e32 v105, v105, v108
	;; [unrolled: 1-line block ×4, first 2 shown]
	v_sub_f32_e32 v81, v179, v93
	v_add_f32_e32 v111, v133, v237
	v_add_f32_e32 v109, v112, v109
	v_sub_f32_e32 v112, v210, v124
	v_add_f32_e32 v13, v24, v13
	v_add_f32_e32 v17, v66, v168
	;; [unrolled: 1-line block ×3, first 2 shown]
	v_sub_f32_e32 v20, v181, v65
	v_add_f32_e32 v19, v19, v15
	v_add_f32_e32 v21, v18, v16
	v_mov_b32_e32 v22, 3
	v_add_f32_e32 v105, v108, v105
	v_add_f32_e32 v108, v114, v200
	;; [unrolled: 1-line block ×3, first 2 shown]
	v_sub_f32_e32 v75, v176, v98
	v_sub_f32_e32 v35, v209, v69
	v_add_f32_e32 v94, v111, v104
	v_add_f32_e32 v104, v112, v109
	v_sub_f32_e32 v109, v169, v126
	v_sub_f32_e32 v131, v170, v165
	v_add_f32_e32 v16, v17, v13
	v_add_f32_e32 v15, v20, v12
	;; [unrolled: 1-line block ×4, first 2 shown]
	v_lshlrev_b32_sdwa v12, v22, v91 dst_sel:DWORD dst_unused:UNUSED_PAD src0_sel:DWORD src1_sel:WORD_0
	v_add_f32_e32 v79, v108, v105
	v_add_f32_e32 v78, v75, v73
	;; [unrolled: 1-line block ×6, first 2 shown]
	ds_write2_b64 v12, v[17:18], v[15:16] offset1:1
	ds_write2_b64 v12, v[13:14], v[78:79] offset0:2 offset1:3
	ds_write2_b64 v12, v[93:94], v[106:107] offset0:4 offset1:5
	;; [unrolled: 1-line block ×7, first 2 shown]
	ds_write_b64 v12, v[63:64] offset:128
.LBB0_7:
	s_or_b32 exec_lo, exec_lo, s4
	v_and_b32_e32 v12, 0xff, v90
	s_load_dwordx4 s[4:7], s[0:1], 0x0
	s_waitcnt lgkmcnt(0)
	s_barrier
	buffer_gl0_inv
	v_mul_lo_u16 v12, 0xf1, v12
	v_add_nc_u32_e32 v50, 0x400, v89
	v_add_nc_u32_e32 v48, 0x800, v89
	v_mov_b32_e32 v45, 0x99
	v_add_nc_u32_e32 v51, 0x1000, v89
	v_lshrrev_b16 v44, 12, v12
	v_add_nc_u32_e32 v53, 0xc00, v89
	v_cmp_gt_u16_e64 s0, 51, v90
	v_mul_lo_u16 v12, v44, 17
	v_mul_u32_u24_sdwa v52, v44, v45 dst_sel:DWORD dst_unused:UNUSED_PAD src0_sel:WORD_0 src1_sel:DWORD
	v_sub_nc_u16 v12, v90, v12
	v_and_b32_e32 v49, 0xff, v12
	v_lshlrev_b32_e32 v12, 6, v49
	v_add_lshl_u32 v92, v52, v49, 3
	s_clause 0x3
	global_load_dwordx4 v[24:27], v12, s[2:3]
	global_load_dwordx4 v[20:23], v12, s[2:3] offset:16
	global_load_dwordx4 v[16:19], v12, s[2:3] offset:32
	;; [unrolled: 1-line block ×3, first 2 shown]
	ds_read2_b64 v[28:31], v89 offset1:102
	ds_read2_b64 v[32:35], v50 offset0:76 offset1:178
	ds_read2_b64 v[36:39], v48 offset0:152 offset1:254
	;; [unrolled: 1-line block ×3, first 2 shown]
	ds_read_b64 v[44:45], v89 offset:6528
	s_waitcnt vmcnt(0) lgkmcnt(0)
	s_barrier
	buffer_gl0_inv
	v_mul_f32_e32 v52, v30, v25
	v_mul_f32_e32 v54, v33, v27
	;; [unrolled: 1-line block ×16, first 2 shown]
	v_fmac_f32_e32 v52, v31, v24
	v_fma_f32 v31, v32, v26, -v54
	v_fmac_f32_e32 v55, v33, v26
	v_fma_f32 v32, v34, v20, -v56
	v_fma_f32 v33, v36, v22, -v58
	v_fmac_f32_e32 v59, v37, v22
	v_fma_f32 v34, v38, v16, -v60
	v_fmac_f32_e32 v61, v39, v16
	v_fmac_f32_e32 v70, v45, v14
	v_fma_f32 v37, v42, v12, -v67
	v_fmac_f32_e32 v68, v43, v12
	v_fma_f32 v30, v30, v24, -v49
	v_fma_f32 v36, v44, v14, -v69
	v_fmac_f32_e32 v57, v35, v20
	v_fma_f32 v35, v40, v18, -v65
	v_fmac_f32_e32 v66, v41, v18
	v_add_f32_e32 v39, v52, v70
	v_add_f32_e32 v40, v31, v37
	;; [unrolled: 1-line block ×3, first 2 shown]
	v_sub_f32_e32 v44, v52, v70
	v_sub_f32_e32 v49, v33, v34
	;; [unrolled: 1-line block ×4, first 2 shown]
	v_add_f32_e32 v54, v33, v34
	v_add_f32_e32 v55, v59, v61
	;; [unrolled: 1-line block ×3, first 2 shown]
	v_sub_f32_e32 v36, v30, v36
	v_sub_f32_e32 v37, v31, v37
	v_mul_f32_e32 v73, 0x3f7c1c5c, v49
	v_mul_f32_e32 v74, 0x3f7c1c5c, v52
	v_fmamk_f32 v75, v40, 0x3f441b7d, v28
	v_fmamk_f32 v76, v41, 0x3f441b7d, v29
	v_add_f32_e32 v42, v32, v35
	v_add_f32_e32 v43, v57, v66
	v_sub_f32_e32 v32, v32, v35
	v_sub_f32_e32 v35, v57, v66
	v_mul_f32_e32 v65, 0xbf248dbb, v49
	v_mul_f32_e32 v66, 0xbf248dbb, v52
	v_fmamk_f32 v67, v54, 0x3f441b7d, v28
	v_fmamk_f32 v68, v55, 0x3f441b7d, v29
	v_mul_f32_e32 v56, 0x3f248dbb, v36
	v_mul_f32_e32 v57, 0x3f248dbb, v44
	v_fmamk_f32 v58, v38, 0x3f441b7d, v28
	v_fmamk_f32 v60, v39, 0x3f441b7d, v29
	v_add_f32_e32 v71, v40, v38
	v_add_f32_e32 v72, v41, v39
	v_fma_f32 v73, 0xbf248dbb, v37, -v73
	v_fma_f32 v74, 0xbf248dbb, v45, -v74
	v_fmac_f32_e32 v75, 0x3e31d0d4, v54
	v_fmac_f32_e32 v76, 0x3e31d0d4, v55
	;; [unrolled: 1-line block ×10, first 2 shown]
	v_add_f32_e32 v77, v54, v71
	v_add_f32_e32 v78, v55, v72
	;; [unrolled: 1-line block ×4, first 2 shown]
	v_fmac_f32_e32 v73, 0x3f5db3d7, v32
	v_fmac_f32_e32 v74, 0x3f5db3d7, v35
	v_fmac_f32_e32 v75, -0.5, v42
	v_fmac_f32_e32 v76, -0.5, v43
	v_add_f32_e32 v69, v49, v36
	v_add_f32_e32 v70, v52, v44
	v_add_f32_e32 v30, v42, v28
	v_add_f32_e32 v31, v43, v29
	v_fmac_f32_e32 v65, 0xbf5db3d7, v32
	v_fmac_f32_e32 v66, 0xbf5db3d7, v35
	v_fmac_f32_e32 v67, -0.5, v42
	v_fmac_f32_e32 v68, -0.5, v43
	v_fmac_f32_e32 v56, 0x3f5db3d7, v32
	v_fmac_f32_e32 v57, 0x3f5db3d7, v35
	v_fmac_f32_e32 v58, -0.5, v42
	v_fmac_f32_e32 v60, -0.5, v43
	v_add_f32_e32 v32, v33, v71
	v_add_f32_e32 v33, v59, v72
	v_fmac_f32_e32 v73, 0x3eaf1d44, v36
	v_fmac_f32_e32 v74, 0x3eaf1d44, v44
	;; [unrolled: 1-line block ×4, first 2 shown]
	v_sub_f32_e32 v69, v69, v37
	v_sub_f32_e32 v70, v70, v45
	v_fmac_f32_e32 v30, -0.5, v77
	v_fmac_f32_e32 v31, -0.5, v78
	v_fmac_f32_e32 v65, 0x3eaf1d44, v37
	v_fmac_f32_e32 v66, 0x3eaf1d44, v45
	;; [unrolled: 1-line block ×8, first 2 shown]
	v_add_f32_e32 v40, v34, v32
	v_add_f32_e32 v41, v61, v33
	;; [unrolled: 1-line block ×3, first 2 shown]
	v_sub_f32_e32 v39, v76, v73
	v_mul_f32_e32 v79, 0x3f5db3d7, v69
	v_mul_f32_e32 v80, 0x3f5db3d7, v70
	v_fmac_f32_e32 v30, 0x3f5db3d7, v70
	v_fmac_f32_e32 v31, 0xbf5db3d7, v69
	v_add_f32_e32 v34, v66, v67
	v_sub_f32_e32 v35, v68, v65
	v_add_f32_e32 v32, v57, v58
	v_sub_f32_e32 v33, v60, v56
	v_add_f32_e32 v28, v40, v28
	v_add_f32_e32 v29, v41, v29
	v_fma_f32 v42, -2.0, v74, v38
	v_fma_f32 v43, 2.0, v73, v39
	v_fma_f32 v36, -2.0, v80, v30
	v_fma_f32 v37, 2.0, v79, v31
	;; [unrolled: 2-line block ×4, first 2 shown]
	ds_write2_b64 v92, v[28:29], v[32:33] offset1:17
	ds_write2_b64 v92, v[34:35], v[30:31] offset0:34 offset1:51
	ds_write2_b64 v92, v[38:39], v[42:43] offset0:68 offset1:85
	;; [unrolled: 1-line block ×3, first 2 shown]
	ds_write_b64 v92, v[44:45] offset:1088
	s_waitcnt lgkmcnt(0)
	s_barrier
	buffer_gl0_inv
	ds_read2_b64 v[28:31], v89 offset1:102
	ds_read2_b64 v[40:43], v53 offset0:75 offset1:177
	ds_read2_b64 v[32:35], v50 offset0:76 offset1:178
	ds_read2_b64 v[36:39], v51 offset0:151 offset1:253
	s_and_saveexec_b32 s1, s0
	s_cbranch_execz .LBB0_9
; %bb.8:
	ds_read_b64 v[44:45], v89 offset:3264
	ds_read_b64 v[46:47], v89 offset:6936
.LBB0_9:
	s_or_b32 exec_lo, exec_lo, s1
	v_add_co_u32 v49, s1, 0x66, v90
	v_add_co_ci_u32_e64 v50, null, 0, 0, s1
	v_add_co_u32 v51, s1, 0xffffffcd, v90
	v_add_nc_u32_e32 v52, 0x132, v90
	v_add_co_ci_u32_e64 v53, null, 0, -1, s1
	v_mov_b32_e32 v55, 0x358b
	v_add_nc_u32_e32 v56, 0x198, v90
	s_clause 0x1
	global_load_dwordx2 v[71:72], v89, s[2:3] offset:1088
	global_load_dwordx2 v[67:68], v89, s[2:3] offset:1496
	v_cndmask_b32_e64 v54, v53, v50, s0
	v_mul_u32_u24_sdwa v50, v52, v55 dst_sel:DWORD dst_unused:UNUSED_PAD src0_sel:WORD_0 src1_sel:DWORD
	v_mul_u32_u24_sdwa v55, v56, v55 dst_sel:DWORD dst_unused:UNUSED_PAD src0_sel:WORD_0 src1_sel:DWORD
	v_cndmask_b32_e64 v53, v51, v49, s0
	v_lshrrev_b32_e32 v57, 21, v50
	v_lshrrev_b32_e32 v55, 21, v55
	v_lshlrev_b64 v[50:51], 3, v[53:54]
	v_mul_lo_u16 v54, 0x99, v57
	v_mul_lo_u16 v55, 0x99, v55
	v_mov_b32_e32 v57, 3
	v_add_co_u32 v50, s1, s2, v50
	v_add_co_ci_u32_e64 v51, s1, s3, v51, s1
	v_sub_nc_u16 v93, v56, v55
	v_sub_nc_u16 v52, v52, v54
	v_cmp_lt_u16_e64 s1, 50, v90
	global_load_dwordx2 v[73:74], v[50:51], off offset:1088
	v_lshlrev_b32_sdwa v50, v57, v93 dst_sel:DWORD dst_unused:UNUSED_PAD src0_sel:DWORD src1_sel:WORD_0
	v_lshlrev_b32_sdwa v94, v57, v52 dst_sel:DWORD dst_unused:UNUSED_PAD src0_sel:DWORD src1_sel:WORD_0
	s_clause 0x1
	global_load_dwordx2 v[65:66], v50, s[2:3] offset:1088
	global_load_dwordx2 v[69:70], v94, s[2:3] offset:1088
	v_cndmask_b32_e64 v54, 0, 0x132, s1
	v_add_co_u32 v51, s1, s2, v89
	v_add_co_ci_u32_e64 v52, null, s3, 0, s1
	v_add_lshl_u32 v95, v53, v54, 3
	s_waitcnt vmcnt(0) lgkmcnt(0)
	s_barrier
	buffer_gl0_inv
	v_mul_f32_e32 v53, v40, v72
	v_mul_f32_e32 v56, v36, v68
	;; [unrolled: 1-line block ×4, first 2 shown]
	v_fmac_f32_e32 v53, v41, v71
	v_fmac_f32_e32 v56, v37, v67
	v_fma_f32 v40, v40, v71, -v55
	v_fma_f32 v41, v36, v67, -v54
	v_sub_f32_e32 v37, v29, v53
	v_sub_f32_e32 v36, v28, v40
	;; [unrolled: 1-line block ×4, first 2 shown]
	v_fma_f32 v29, v29, 2.0, -v37
	v_fma_f32 v28, v28, 2.0, -v36
	;; [unrolled: 1-line block ×4, first 2 shown]
	v_mul_f32_e32 v53, v43, v74
	v_mul_f32_e32 v54, v42, v74
	v_fma_f32 v42, v42, v73, -v53
	v_mul_f32_e32 v56, v47, v66
	v_mul_f32_e32 v53, v39, v70
	;; [unrolled: 1-line block ×4, first 2 shown]
	v_fmac_f32_e32 v54, v43, v73
	v_fma_f32 v46, v46, v65, -v56
	v_fma_f32 v38, v38, v69, -v53
	v_fmac_f32_e32 v55, v39, v69
	v_fmac_f32_e32 v57, v47, v65
	v_sub_f32_e32 v42, v30, v42
	v_sub_f32_e32 v43, v31, v54
	;; [unrolled: 1-line block ×6, first 2 shown]
	v_fma_f32 v30, v30, 2.0, -v42
	v_fma_f32 v31, v31, 2.0, -v43
	;; [unrolled: 1-line block ×4, first 2 shown]
	v_add_nc_u32_e32 v53, 0x1000, v94
	ds_write2_b64 v89, v[28:29], v[36:37] offset1:153
	ds_write2_b64 v95, v[30:31], v[42:43] offset1:153
	ds_write2_b64 v48, v[32:33], v[40:41] offset0:101 offset1:254
	ds_write2_b64 v53, v[34:35], v[38:39] offset0:100 offset1:253
	s_and_saveexec_b32 s1, s0
	s_cbranch_execz .LBB0_11
; %bb.10:
	v_fma_f32 v29, v45, 2.0, -v47
	v_fma_f32 v28, v44, 2.0, -v46
	v_add_nc_u32_e32 v30, 0x1000, v50
	ds_write2_b64 v30, v[28:29], v[46:47] offset0:100 offset1:253
.LBB0_11:
	s_or_b32 exec_lo, exec_lo, s1
	v_add_co_u32 v28, s1, v51, v89
	v_add_co_ci_u32_e64 v29, s1, 0, v52, s1
	v_lshlrev_b32_e32 v32, 4, v49
	v_add_co_u32 v28, s1, 0x800, v28
	v_lshl_add_u32 v33, v90, 4, 0xcc0
	v_add_co_ci_u32_e64 v29, s1, 0, v29, s1
	v_add_co_u32 v32, s1, s2, v32
	v_add_co_ci_u32_e64 v34, null, s3, 0, s1
	v_add_co_u32 v35, s1, s2, v33
	v_add_co_ci_u32_e64 v36, null, s3, 0, s1
	v_add_co_u32 v32, s1, 0x800, v32
	v_add_co_ci_u32_e64 v33, s1, 0, v34, s1
	v_add_co_u32 v34, s1, 0x800, v35
	s_waitcnt lgkmcnt(0)
	s_barrier
	buffer_gl0_inv
	global_load_dwordx4 v[28:31], v[28:29], off offset:264
	v_add_co_ci_u32_e64 v35, s1, 0, v36, s1
	s_clause 0x1
	global_load_dwordx4 v[36:39], v[32:33], off offset:264
	global_load_dwordx4 v[32:35], v[34:35], off offset:264
	v_add_nc_u32_e32 v75, 0x400, v89
	v_add_nc_u32_e32 v44, 0x1000, v89
	ds_read2_b64 v[52:55], v75 offset0:76 offset1:178
	ds_read2_b64 v[40:43], v44 offset0:100 offset1:202
	v_add_nc_u32_e32 v45, 0x800, v89
	ds_read2_b64 v[56:59], v45 offset0:152 offset1:254
	ds_read_b64 v[60:61], v89 offset:6528
	ds_read2_b64 v[48:51], v89 offset1:102
	s_waitcnt vmcnt(2) lgkmcnt(4)
	v_mul_f32_e32 v76, v55, v29
	v_mul_f32_e32 v77, v54, v29
	s_waitcnt lgkmcnt(3)
	v_mul_f32_e32 v78, v41, v31
	v_mul_f32_e32 v79, v40, v31
	v_fma_f32 v54, v54, v28, -v76
	v_fmac_f32_e32 v77, v55, v28
	v_fma_f32 v40, v40, v30, -v78
	v_fmac_f32_e32 v79, v41, v30
	s_waitcnt vmcnt(1) lgkmcnt(2)
	v_mul_f32_e32 v41, v57, v37
	v_mul_f32_e32 v76, v56, v37
	;; [unrolled: 1-line block ×4, first 2 shown]
	s_waitcnt vmcnt(0)
	v_mul_f32_e32 v80, v59, v33
	v_mul_f32_e32 v81, v58, v33
	s_waitcnt lgkmcnt(1)
	v_mul_f32_e32 v82, v61, v35
	v_mul_f32_e32 v83, v60, v35
	v_fma_f32 v56, v56, v36, -v41
	v_fmac_f32_e32 v76, v57, v36
	v_fma_f32 v57, v42, v38, -v55
	v_fmac_f32_e32 v78, v43, v38
	;; [unrolled: 2-line block ×4, first 2 shown]
	s_waitcnt lgkmcnt(0)
	v_add_f32_e32 v41, v48, v54
	v_add_f32_e32 v55, v49, v77
	;; [unrolled: 1-line block ×4, first 2 shown]
	v_sub_f32_e32 v59, v77, v79
	v_sub_f32_e32 v61, v54, v40
	v_add_f32_e32 v40, v41, v40
	v_add_f32_e32 v41, v55, v79
	v_fma_f32 v55, -0.5, v60, v49
	v_add_f32_e32 v49, v56, v57
	v_sub_f32_e32 v60, v76, v78
	v_add_f32_e32 v77, v51, v76
	v_add_f32_e32 v76, v76, v78
	;; [unrolled: 1-line block ×3, first 2 shown]
	v_sub_f32_e32 v84, v81, v83
	v_add_f32_e32 v85, v53, v81
	v_add_f32_e32 v81, v81, v83
	v_fma_f32 v54, -0.5, v43, v48
	v_add_f32_e32 v48, v50, v56
	v_sub_f32_e32 v79, v56, v57
	v_add_f32_e32 v80, v52, v42
	v_sub_f32_e32 v86, v42, v58
	v_fma_f32 v50, -0.5, v49, v50
	v_fmac_f32_e32 v51, -0.5, v76
	v_fma_f32 v52, -0.5, v82, v52
	v_fmac_f32_e32 v53, -0.5, v81
	v_fmamk_f32 v42, v59, 0x3f5db3d7, v54
	v_fmac_f32_e32 v54, 0xbf5db3d7, v59
	v_fmamk_f32 v43, v61, 0xbf5db3d7, v55
	v_fmac_f32_e32 v55, 0x3f5db3d7, v61
	v_add_f32_e32 v56, v48, v57
	v_add_f32_e32 v57, v77, v78
	;; [unrolled: 1-line block ×4, first 2 shown]
	v_fmamk_f32 v48, v60, 0x3f5db3d7, v50
	v_fmac_f32_e32 v50, 0xbf5db3d7, v60
	v_fmamk_f32 v49, v79, 0xbf5db3d7, v51
	v_fmac_f32_e32 v51, 0x3f5db3d7, v79
	;; [unrolled: 2-line block ×4, first 2 shown]
	ds_write2_b64 v89, v[40:41], v[56:57] offset1:102
	ds_write2_b64 v75, v[58:59], v[42:43] offset0:76 offset1:178
	ds_write2_b64 v44, v[54:55], v[50:51] offset0:100 offset1:202
	;; [unrolled: 1-line block ×3, first 2 shown]
	ds_write_b64 v89, v[52:53] offset:6528
	s_waitcnt lgkmcnt(0)
	s_barrier
	buffer_gl0_inv
	s_and_saveexec_b32 s2, vcc_lo
	s_cbranch_execz .LBB0_13
; %bb.12:
	v_add_co_u32 v83, s1, s12, v89
	v_add_co_ci_u32_e64 v84, null, s13, 0, s1
	v_add_nc_u32_e32 v147, 0xc00, v89
	v_add_co_u32 v75, s1, 0x1800, v83
	v_add_co_ci_u32_e64 v76, s1, 0, v84, s1
	v_add_co_u32 v77, s1, 0x1cb0, v83
	v_add_co_ci_u32_e64 v78, s1, 0, v84, s1
	global_load_dwordx2 v[75:76], v[75:76], off offset:1200
	v_add_co_u32 v79, s1, 0x2000, v83
	v_add_co_ci_u32_e64 v80, s1, 0, v84, s1
	v_add_co_u32 v81, s1, 0x2800, v83
	v_add_co_ci_u32_e64 v82, s1, 0, v84, s1
	s_clause 0x8
	global_load_dwordx2 v[87:88], v[77:78], off offset:432
	global_load_dwordx2 v[116:117], v[77:78], off offset:864
	;; [unrolled: 1-line block ×9, first 2 shown]
	v_add_co_u32 v77, s1, 0x3000, v83
	v_add_co_ci_u32_e64 v78, s1, 0, v84, s1
	s_clause 0x6
	global_load_dwordx2 v[132:133], v[81:82], off offset:1424
	global_load_dwordx2 v[134:135], v[81:82], off offset:1856
	;; [unrolled: 1-line block ×7, first 2 shown]
	ds_read_b64 v[77:78], v89
	v_add_nc_u32_e32 v148, 0x1800, v89
	s_waitcnt vmcnt(16) lgkmcnt(0)
	v_mul_f32_e32 v79, v78, v76
	v_mul_f32_e32 v80, v77, v76
	v_fma_f32 v79, v77, v75, -v79
	v_fmac_f32_e32 v80, v78, v75
	ds_write_b64 v89, v[79:80]
	ds_read2_b64 v[75:78], v89 offset0:54 offset1:108
	ds_read2_b64 v[79:82], v89 offset0:162 offset1:216
	;; [unrolled: 1-line block ×8, first 2 shown]
	s_waitcnt vmcnt(15) lgkmcnt(7)
	v_mul_f32_e32 v149, v76, v88
	v_mul_f32_e32 v146, v75, v88
	s_waitcnt vmcnt(14)
	v_mul_f32_e32 v150, v78, v117
	v_mul_f32_e32 v88, v77, v117
	s_waitcnt vmcnt(13) lgkmcnt(6)
	v_mul_f32_e32 v151, v80, v119
	v_mul_f32_e32 v117, v79, v119
	s_waitcnt vmcnt(12)
	v_mul_f32_e32 v152, v82, v121
	v_mul_f32_e32 v119, v81, v121
	;; [unrolled: 6-line block ×8, first 2 shown]
	v_fma_f32 v145, v75, v87, -v149
	v_fmac_f32_e32 v146, v76, v87
	v_fma_f32 v87, v77, v116, -v150
	v_fmac_f32_e32 v88, v78, v116
	;; [unrolled: 2-line block ×16, first 2 shown]
	ds_write2_b64 v89, v[145:146], v[87:88] offset0:54 offset1:108
	ds_write2_b64 v89, v[116:117], v[118:119] offset0:162 offset1:216
	;; [unrolled: 1-line block ×8, first 2 shown]
.LBB0_13:
	s_or_b32 exec_lo, exec_lo, s2
	s_waitcnt lgkmcnt(0)
	s_barrier
	buffer_gl0_inv
	s_and_saveexec_b32 s1, vcc_lo
	s_cbranch_execz .LBB0_15
; %bb.14:
	v_add_nc_u32_e32 v0, 0x400, v89
	v_add_nc_u32_e32 v1, 0x800, v89
	;; [unrolled: 1-line block ×3, first 2 shown]
	ds_read2_b64 v[40:43], v89 offset1:54
	ds_read2_b64 v[54:57], v89 offset0:108 offset1:162
	ds_read2_b64 v[48:51], v0 offset0:88 offset1:142
	;; [unrolled: 1-line block ×3, first 2 shown]
	v_add_nc_u32_e32 v0, 0x1400, v89
	ds_read2_b64 v[58:61], v1 offset0:68 offset1:122
	ds_read2_b64 v[8:11], v2 offset0:28 offset1:82
	;; [unrolled: 1-line block ×3, first 2 shown]
	ds_read_b64 v[63:64], v89 offset:6912
	ds_read2_b64 v[0:3], v0 offset0:116 offset1:170
	s_waitcnt lgkmcnt(5)
	v_mov_b32_e32 v52, v44
	v_mov_b32_e32 v53, v45
.LBB0_15:
	s_or_b32 exec_lo, exec_lo, s1
	s_waitcnt lgkmcnt(1)
	v_sub_f32_e32 v87, v43, v64
	v_add_f32_e32 v88, v64, v43
	v_add_f32_e32 v96, v63, v42
	v_sub_f32_e32 v101, v42, v63
	s_waitcnt lgkmcnt(0)
	v_sub_f32_e32 v113, v55, v3
	v_mul_f32_e32 v75, 0xbe3c28d5, v87
	v_mul_f32_e32 v80, 0xbf7ba420, v88
	v_add_f32_e32 v121, v3, v55
	v_add_f32_e32 v97, v2, v54
	v_sub_f32_e32 v98, v54, v2
	v_fma_f32 v44, 0xbf7ba420, v96, -v75
	v_fmamk_f32 v45, v101, 0xbe3c28d5, v80
	v_mul_f32_e32 v77, 0x3eb8f4ab, v113
	v_mul_f32_e32 v82, 0x3f6eb680, v121
	v_sub_f32_e32 v112, v57, v1
	v_add_f32_e32 v122, v1, v57
	v_add_f32_e32 v44, v40, v44
	v_add_f32_e32 v45, v41, v45
	v_fma_f32 v78, 0x3f6eb680, v97, -v77
	v_fmamk_f32 v79, v98, 0x3eb8f4ab, v82
	v_add_f32_e32 v99, v0, v56
	v_mul_f32_e32 v76, 0xbf06c442, v112
	v_sub_f32_e32 v100, v56, v0
	v_mul_f32_e32 v85, 0xbf59a7d5, v122
	v_sub_f32_e32 v114, v49, v7
	v_add_f32_e32 v123, v7, v49
	v_add_f32_e32 v44, v78, v44
	v_add_f32_e32 v45, v79, v45
	v_fma_f32 v79, 0xbf59a7d5, v99, -v76
	v_fmamk_f32 v81, v100, 0xbf06c442, v85
	v_add_f32_e32 v102, v6, v48
	v_sub_f32_e32 v103, v48, v6
	v_mul_f32_e32 v78, 0x3f2c7751, v114
	v_mul_f32_e32 v86, 0x3f3d2fb0, v123
	v_sub_f32_e32 v115, v51, v5
	v_add_f32_e32 v130, v5, v51
	v_add_f32_e32 v44, v79, v44
	v_add_f32_e32 v45, v81, v45
	v_fma_f32 v81, 0x3f3d2fb0, v102, -v78
	v_fmamk_f32 v83, v103, 0x3f2c7751, v86
	v_add_f32_e32 v104, v4, v50
	v_mul_f32_e32 v79, 0xbf4c4adb, v115
	v_sub_f32_e32 v105, v50, v4
	v_mul_f32_e32 v125, 0xbf1a4643, v130
	v_sub_f32_e32 v116, v59, v11
	v_add_f32_e32 v136, v11, v59
	v_add_f32_e32 v44, v81, v44
	v_add_f32_e32 v45, v83, v45
	v_fma_f32 v83, 0xbf1a4643, v104, -v79
	v_fmamk_f32 v84, v105, 0xbf4c4adb, v125
	v_add_f32_e32 v106, v10, v58
	v_sub_f32_e32 v107, v58, v10
	;; [unrolled: 20-line block ×3, first 2 shown]
	v_mul_f32_e32 v83, 0x3f7ee86f, v118
	v_mul_f32_e32 v127, 0x3dbcf732, v119
	v_add_f32_e32 v44, v128, v44
	v_add_f32_e32 v45, v129, v45
	v_fma_f32 v128, 0x3dbcf732, v110, -v83
	v_fmamk_f32 v129, v111, 0x3f7ee86f, v127
	s_barrier
	buffer_gl0_inv
	v_add_f32_e32 v44, v128, v44
	v_add_f32_e32 v45, v129, v45
	s_and_saveexec_b32 s1, vcc_lo
	s_cbranch_execz .LBB0_17
; %bb.16:
	v_mul_f32_e32 v128, 0xbe3c28d5, v101
	v_mul_f32_e32 v132, 0x3eb8f4ab, v98
	;; [unrolled: 1-line block ×5, first 2 shown]
	v_sub_f32_e32 v80, v80, v128
	v_mul_f32_e32 v128, 0xbf06c442, v100
	v_sub_f32_e32 v82, v82, v132
	v_mul_f32_e32 v137, 0xbf4c4adb, v105
	v_sub_f32_e32 v86, v86, v135
	v_add_f32_e32 v80, v41, v80
	v_sub_f32_e32 v85, v85, v128
	v_add_f32_e32 v75, v129, v75
	v_mul_f32_e32 v133, 0xbf59a7d5, v99
	v_sub_f32_e32 v125, v125, v137
	v_add_f32_e32 v80, v82, v80
	v_mul_f32_e32 v82, 0x3f65296c, v107
	v_add_f32_e32 v77, v131, v77
	v_add_f32_e32 v75, v40, v75
	v_mul_f32_e32 v140, 0xbf59a7d5, v88
	v_add_f32_e32 v80, v85, v80
	v_mul_f32_e32 v134, 0x3f3d2fb0, v102
	v_sub_f32_e32 v82, v124, v82
	v_add_f32_e32 v76, v133, v76
	v_add_f32_e32 v75, v77, v75
	;; [unrolled: 1-line block ×3, first 2 shown]
	v_fmamk_f32 v86, v101, 0x3f06c442, v140
	v_mul_f32_e32 v124, 0x3ee437d1, v121
	v_mul_f32_e32 v132, 0xbf1a4643, v104
	v_add_f32_e32 v75, v76, v75
	v_add_f32_e32 v80, v125, v80
	;; [unrolled: 1-line block ×4, first 2 shown]
	v_mul_f32_e32 v125, 0x3dbcf732, v122
	v_mul_f32_e32 v138, 0x3ee437d1, v106
	v_add_f32_e32 v80, v82, v80
	v_fmamk_f32 v82, v98, 0xbf65296c, v124
	v_mul_f32_e32 v139, 0xbf763a35, v109
	v_add_f32_e32 v75, v76, v75
	v_add_f32_e32 v76, v132, v79
	v_fmamk_f32 v79, v100, 0x3f7ee86f, v125
	v_add_f32_e32 v78, v82, v78
	v_mul_f32_e32 v131, 0xbf1a4643, v123
	v_mul_f32_e32 v128, 0xbe8c1d8e, v108
	;; [unrolled: 1-line block ×3, first 2 shown]
	v_sub_f32_e32 v86, v126, v139
	v_add_f32_e32 v75, v76, v75
	v_add_f32_e32 v76, v138, v81
	v_add_f32_e32 v78, v79, v78
	v_fmamk_f32 v79, v103, 0xbf4c4adb, v131
	v_mul_f32_e32 v132, 0x3f6eb680, v130
	v_mul_f32_e32 v85, 0x3dbcf732, v110
	v_add_f32_e32 v80, v86, v80
	v_sub_f32_e32 v77, v127, v77
	v_add_f32_e32 v75, v76, v75
	v_add_f32_e32 v81, v128, v84
	;; [unrolled: 1-line block ×3, first 2 shown]
	v_fmamk_f32 v79, v105, 0x3eb8f4ab, v132
	v_mul_f32_e32 v133, 0xbf7ba420, v136
	v_mul_f32_e32 v142, 0xbf06c442, v87
	v_add_f32_e32 v76, v77, v80
	v_add_f32_e32 v75, v81, v75
	;; [unrolled: 1-line block ×3, first 2 shown]
	v_fmamk_f32 v78, v107, 0x3e3c28d5, v133
	v_mul_f32_e32 v134, 0x3f3d2fb0, v120
	v_add_f32_e32 v79, v85, v83
	v_fmamk_f32 v80, v96, 0xbf59a7d5, v142
	v_mul_f32_e32 v143, 0x3f65296c, v113
	v_add_f32_e32 v77, v78, v77
	v_fmamk_f32 v78, v109, 0xbf2c7751, v134
	v_add_f32_e32 v75, v79, v75
	v_add_f32_e32 v79, v40, v80
	v_fmamk_f32 v80, v97, 0x3ee437d1, v143
	v_mul_f32_e32 v144, 0xbf7ee86f, v112
	v_mul_f32_e32 v141, 0xbf1a4643, v88
	v_add_f32_e32 v77, v78, v77
	v_mul_f32_e32 v170, 0x3f4c4adb, v114
	v_add_f32_e32 v78, v80, v79
	v_fmamk_f32 v79, v99, 0x3dbcf732, v144
	v_fmamk_f32 v81, v101, 0x3f4c4adb, v141
	v_mul_f32_e32 v138, 0xbe8c1d8e, v121
	v_mul_f32_e32 v172, 0xbeb8f4ab, v115
	v_mul_f32_e32 v126, 0x3f6eb680, v122
	v_add_f32_e32 v78, v79, v78
	v_fmamk_f32 v79, v102, 0xbf1a4643, v170
	v_add_f32_e32 v81, v41, v81
	v_fmamk_f32 v82, v98, 0xbf763a35, v138
	v_mul_f32_e32 v137, 0xbe8c1d8e, v119
	v_mul_f32_e32 v174, 0xbe3c28d5, v116
	v_add_f32_e32 v78, v79, v78
	v_fmamk_f32 v79, v104, 0x3f6eb680, v172
	v_add_f32_e32 v81, v82, v81
	v_fmamk_f32 v82, v100, 0x3eb8f4ab, v126
	v_mul_f32_e32 v127, 0xbf59a7d5, v123
	v_fmamk_f32 v80, v111, 0x3f763a35, v137
	v_add_f32_e32 v78, v79, v78
	v_fmamk_f32 v79, v106, 0xbf7ba420, v174
	v_mul_f32_e32 v155, 0x3f2c7751, v117
	v_add_f32_e32 v81, v82, v81
	v_fmamk_f32 v82, v103, 0x3f06c442, v127
	v_mul_f32_e32 v128, 0x3dbcf732, v130
	v_add_f32_e32 v79, v79, v78
	v_fmamk_f32 v83, v108, 0x3f3d2fb0, v155
	v_add_f32_e32 v78, v80, v77
	v_add_f32_e32 v77, v82, v81
	v_fmamk_f32 v80, v105, 0xbf7ee86f, v128
	v_mul_f32_e32 v129, 0x3f3d2fb0, v136
	v_mul_f32_e32 v146, 0xbf763a35, v118
	v_mul_f32_e32 v149, 0xbf4c4adb, v87
	v_add_f32_e32 v79, v83, v79
	v_add_f32_e32 v77, v80, v77
	v_fmamk_f32 v80, v107, 0x3f2c7751, v129
	v_mul_f32_e32 v135, 0xbf7ba420, v120
	v_fmamk_f32 v81, v110, 0xbe8c1d8e, v146
	v_fmamk_f32 v82, v96, 0xbf1a4643, v149
	v_mul_f32_e32 v153, 0x3f763a35, v113
	v_add_f32_e32 v80, v80, v77
	v_fmamk_f32 v83, v109, 0x3e3c28d5, v135
	v_add_f32_e32 v77, v81, v79
	v_add_f32_e32 v79, v40, v82
	v_fmamk_f32 v81, v97, 0xbe8c1d8e, v153
	v_mul_f32_e32 v145, 0xbeb8f4ab, v112
	v_mul_f32_e32 v175, 0xbe8c1d8e, v88
	v_add_f32_e32 v80, v83, v80
	v_mul_f32_e32 v165, 0xbf06c442, v114
	v_add_f32_e32 v79, v81, v79
	v_fmamk_f32 v81, v99, 0x3f6eb680, v145
	v_fmamk_f32 v83, v101, 0x3f763a35, v175
	v_mul_f32_e32 v176, 0xbf59a7d5, v121
	v_mul_f32_e32 v166, 0x3f7ee86f, v115
	v_mul_f32_e32 v177, 0x3f3d2fb0, v122
	v_add_f32_e32 v79, v81, v79
	v_fmamk_f32 v81, v102, 0xbf59a7d5, v165
	v_add_f32_e32 v83, v41, v83
	v_fmamk_f32 v84, v98, 0xbf06c442, v176
	v_mul_f32_e32 v139, 0x3ee437d1, v119
	v_mul_f32_e32 v167, 0xbf2c7751, v116
	v_add_f32_e32 v79, v81, v79
	v_fmamk_f32 v81, v104, 0x3dbcf732, v166
	v_add_f32_e32 v83, v84, v83
	v_fmamk_f32 v84, v100, 0xbf2c7751, v177
	v_mul_f32_e32 v178, 0x3ee437d1, v123
	v_fmamk_f32 v82, v111, 0xbf65296c, v139
	v_add_f32_e32 v79, v81, v79
	v_fmamk_f32 v81, v106, 0x3f3d2fb0, v167
	v_mul_f32_e32 v168, 0xbe3c28d5, v117
	v_add_f32_e32 v83, v84, v83
	v_fmamk_f32 v84, v103, 0x3f65296c, v178
	v_mul_f32_e32 v179, 0xbf7ba420, v130
	v_add_f32_e32 v79, v81, v79
	v_fmamk_f32 v81, v108, 0xbf7ba420, v168
	v_add_f32_e32 v80, v82, v80
	v_add_f32_e32 v82, v84, v83
	v_fmamk_f32 v83, v105, 0x3e3c28d5, v179
	v_mul_f32_e32 v151, 0x3dbcf732, v136
	v_mul_f32_e32 v159, 0x3f65296c, v118
	v_mul_f32_e32 v183, 0xbf763a35, v87
	v_add_f32_e32 v79, v81, v79
	v_add_f32_e32 v81, v83, v82
	v_fmamk_f32 v82, v107, 0xbf7ee86f, v151
	v_mul_f32_e32 v147, 0x3f6eb680, v120
	v_fmamk_f32 v83, v110, 0x3ee437d1, v159
	;; [unrolled: 48-line block ×3, first 2 shown]
	v_fmamk_f32 v86, v96, 0x3dbcf732, v192
	v_mul_f32_e32 v193, 0xbe3c28d5, v113
	v_add_f32_e32 v84, v84, v81
	v_fmamk_f32 v161, v109, 0xbf4c4adb, v180
	v_add_f32_e32 v81, v85, v83
	v_add_f32_e32 v83, v40, v86
	v_fmamk_f32 v85, v97, 0xbf7ba420, v193
	v_mul_f32_e32 v194, 0x3f763a35, v112
	v_mul_f32_e32 v190, 0x3ee437d1, v88
	v_add_f32_e32 v84, v161, v84
	v_mul_f32_e32 v212, 0x3eb8f4ab, v114
	v_add_f32_e32 v83, v85, v83
	v_fmamk_f32 v85, v99, 0xbe8c1d8e, v194
	v_fmamk_f32 v161, v101, 0x3f65296c, v190
	v_mul_f32_e32 v186, 0xbf1a4643, v121
	v_mul_f32_e32 v213, 0xbf65296c, v115
	;; [unrolled: 1-line block ×3, first 2 shown]
	v_add_f32_e32 v83, v85, v83
	v_fmamk_f32 v85, v102, 0x3f6eb680, v212
	v_add_f32_e32 v162, v41, v161
	v_fmamk_f32 v163, v98, 0x3f4c4adb, v186
	v_mul_f32_e32 v161, 0xbf7ba420, v122
	v_mul_f32_e32 v214, 0xbf06c442, v116
	v_add_f32_e32 v83, v85, v83
	v_fmamk_f32 v85, v104, 0x3ee437d1, v213
	v_add_f32_e32 v163, v163, v162
	v_fmamk_f32 v164, v100, 0xbe3c28d5, v161
	v_mul_f32_e32 v162, 0xbe8c1d8e, v123
	v_fmamk_f32 v86, v111, 0xbf2c7751, v184
	v_add_f32_e32 v83, v85, v83
	v_fmamk_f32 v85, v106, 0xbf59a7d5, v214
	v_mul_f32_e32 v207, 0x3f4c4adb, v117
	v_add_f32_e32 v164, v164, v163
	v_fmamk_f32 v182, v103, 0xbf763a35, v162
	v_mul_f32_e32 v163, 0x3f3d2fb0, v130
	v_add_f32_e32 v83, v85, v83
	v_fmamk_f32 v85, v108, 0xbf1a4643, v207
	v_add_f32_e32 v84, v86, v84
	v_add_f32_e32 v86, v182, v164
	v_fmamk_f32 v182, v105, 0xbf2c7751, v163
	v_mul_f32_e32 v164, 0x3f6eb680, v136
	v_mul_f32_e32 v202, 0xbf65296c, v87
	v_add_f32_e32 v83, v85, v83
	v_mul_f32_e32 v205, 0xbf4c4adb, v113
	v_add_f32_e32 v85, v182, v86
	v_fmamk_f32 v86, v107, 0x3eb8f4ab, v164
	v_mul_f32_e32 v182, 0x3dbcf732, v120
	v_fmamk_f32 v188, v96, 0x3ee437d1, v202
	v_fmamk_f32 v191, v97, 0xbf1a4643, v205
	v_mul_f32_e32 v195, 0x3e3c28d5, v112
	v_add_f32_e32 v85, v86, v85
	v_fmamk_f32 v86, v109, 0x3f7ee86f, v182
	v_add_f32_e32 v188, v40, v188
	v_mul_f32_e32 v215, 0x3f3d2fb0, v88
	v_mul_f32_e32 v196, 0x3f2c7751, v118
	v_mul_f32_e32 v208, 0x3f763a35, v114
	v_add_f32_e32 v85, v86, v85
	v_add_f32_e32 v86, v191, v188
	v_fmamk_f32 v188, v99, 0xbf7ba420, v195
	v_fmamk_f32 v197, v101, 0x3f2c7751, v215
	v_mul_f32_e32 v216, 0x3dbcf732, v121
	v_fmamk_f32 v187, v110, 0x3f3d2fb0, v196
	v_mul_f32_e32 v209, 0x3f2c7751, v115
	v_add_f32_e32 v86, v188, v86
	v_fmamk_f32 v188, v102, 0xbe8c1d8e, v208
	v_add_f32_e32 v197, v41, v197
	v_fmamk_f32 v198, v98, 0x3f7ee86f, v216
	v_mul_f32_e32 v217, 0xbf1a4643, v122
	v_add_f32_e32 v83, v187, v83
	v_mul_f32_e32 v187, 0xbf59a7d5, v119
	v_add_f32_e32 v86, v188, v86
	v_fmamk_f32 v188, v104, 0x3f3d2fb0, v209
	v_mul_f32_e32 v210, 0xbeb8f4ab, v116
	v_add_f32_e32 v197, v198, v197
	v_fmamk_f32 v198, v100, 0x3f4c4adb, v217
	v_mul_f32_e32 v218, 0xbf7ba420, v123
	v_fmamk_f32 v191, v111, 0x3f06c442, v187
	v_add_f32_e32 v86, v188, v86
	v_fmamk_f32 v188, v106, 0x3f6eb680, v210
	v_add_f32_e32 v197, v198, v197
	v_fmamk_f32 v198, v103, 0x3e3c28d5, v218
	v_mul_f32_e32 v219, 0xbf59a7d5, v130
	v_mul_f32_e32 v203, 0xbe8c1d8e, v136
	v_add_f32_e32 v188, v188, v86
	v_add_f32_e32 v86, v191, v85
	;; [unrolled: 1-line block ×3, first 2 shown]
	v_fmamk_f32 v191, v105, 0xbf06c442, v219
	v_mul_f32_e32 v221, 0xbf2c7751, v87
	v_mul_f32_e32 v197, 0x3ee437d1, v120
	v_mul_f32_e32 v211, 0xbf7ee86f, v117
	v_mul_f32_e32 v222, 0xbf7ee86f, v113
	v_add_f32_e32 v85, v191, v85
	v_fmamk_f32 v191, v107, 0xbf763a35, v203
	v_fmamk_f32 v198, v96, 0x3f3d2fb0, v221
	;; [unrolled: 1-line block ×4, first 2 shown]
	v_mul_f32_e32 v220, 0xbf06c442, v118
	v_add_f32_e32 v200, v191, v85
	v_add_f32_e32 v198, v40, v198
	v_fmamk_f32 v204, v97, 0x3dbcf732, v222
	v_add_f32_e32 v188, v199, v188
	v_fmamk_f32 v199, v110, 0xbf59a7d5, v220
	v_add_f32_e32 v223, v201, v200
	v_mul_f32_e32 v200, 0x3f6eb680, v88
	v_mul_f32_e32 v191, 0xbf4c4adb, v112
	v_add_f32_e32 v88, v204, v198
	v_mul_f32_e32 v201, 0x3f3d2fb0, v121
	v_add_f32_e32 v85, v199, v188
	v_fmamk_f32 v204, v101, 0x3eb8f4ab, v200
	v_fmamk_f32 v199, v99, 0xbf1a4643, v191
	v_mul_f32_e32 v198, 0xbe3c28d5, v114
	v_fmamk_f32 v224, v98, 0x3f2c7751, v201
	v_mul_f32_e32 v130, 0xbe8c1d8e, v130
	v_add_f32_e32 v206, v41, v204
	v_mul_f32_e32 v204, 0x3ee437d1, v122
	v_add_f32_e32 v88, v199, v88
	v_fmamk_f32 v121, v102, 0xbf7ba420, v198
	v_mul_f32_e32 v199, 0x3f06c442, v115
	v_add_f32_e32 v224, v224, v206
	v_fmamk_f32 v225, v100, 0x3f65296c, v204
	;; [unrolled: 3-line block ×6, first 2 shown]
	v_mul_f32_e32 v136, 0xbf1a4643, v136
	v_add_f32_e32 v43, v43, v41
	v_add_f32_e32 v88, v121, v88
	v_fmamk_f32 v226, v108, 0x3ee437d1, v123
	v_fmamk_f32 v227, v111, 0xbeb8f4ab, v188
	v_add_f32_e32 v224, v225, v224
	v_fmamk_f32 v225, v107, 0x3f4c4adb, v136
	v_mul_f32_e32 v229, 0xbeb8f4ab, v87
	v_add_f32_e32 v43, v55, v43
	v_add_f32_e32 v42, v42, v40
	v_add_f32_e32 v226, v226, v88
	v_add_f32_e32 v88, v227, v223
	v_add_f32_e32 v223, v225, v224
	v_fmamk_f32 v224, v96, 0x3f6eb680, v229
	v_mul_f32_e32 v113, 0xbf2c7751, v113
	v_add_f32_e32 v43, v57, v43
	v_add_f32_e32 v42, v54, v42
	v_mul_f32_e32 v55, 0xbf59a7d5, v120
	v_add_f32_e32 v120, v40, v224
	v_fmamk_f32 v224, v97, 0x3f3d2fb0, v113
	v_mul_f32_e32 v54, 0xbf65296c, v112
	v_add_f32_e32 v43, v49, v43
	v_add_f32_e32 v42, v56, v42
	v_mul_f32_e32 v56, 0xbf7ee86f, v114
	v_add_f32_e32 v112, v224, v120
	v_fmamk_f32 v49, v99, 0x3ee437d1, v54
	v_add_f32_e32 v43, v51, v43
	v_add_f32_e32 v42, v48, v42
	v_mul_f32_e32 v51, 0xbf763a35, v115
	v_fmac_f32_e32 v140, 0xbf06c442, v101
	v_add_f32_e32 v48, v49, v112
	v_fmamk_f32 v49, v102, 0x3dbcf732, v56
	v_add_f32_e32 v43, v59, v43
	v_add_f32_e32 v42, v50, v42
	v_fmac_f32_e32 v124, 0x3f65296c, v98
	v_fmac_f32_e32 v125, 0xbf7ee86f, v100
	v_add_f32_e32 v48, v49, v48
	v_fmamk_f32 v49, v104, 0xbe8c1d8e, v51
	v_add_f32_e32 v43, v61, v43
	v_add_f32_e32 v42, v58, v42
	v_mul_f32_e32 v58, 0xbf4c4adb, v116
	v_fmac_f32_e32 v131, 0x3f4c4adb, v103
	v_add_f32_e32 v48, v49, v48
	v_add_f32_e32 v49, v53, v43
	;; [unrolled: 1-line block ×3, first 2 shown]
	v_fmamk_f32 v53, v106, 0xbf1a4643, v58
	v_mul_f32_e32 v60, 0xbf06c442, v117
	v_fmac_f32_e32 v132, 0xbeb8f4ab, v105
	v_add_f32_e32 v47, v47, v49
	v_add_f32_e32 v42, v52, v42
	;; [unrolled: 1-line block ×3, first 2 shown]
	v_fmamk_f32 v49, v108, 0xbf59a7d5, v60
	v_mul_f32_e32 v52, 0xbe3c28d5, v118
	v_add_f32_e32 v9, v9, v47
	v_add_f32_e32 v42, v46, v42
	v_fmac_f32_e32 v133, 0xbe3c28d5, v107
	v_add_f32_e32 v46, v49, v48
	v_fmamk_f32 v47, v110, 0xbf7ba420, v52
	v_add_f32_e32 v9, v11, v9
	v_add_f32_e32 v8, v8, v42
	;; [unrolled: 1-line block ×3, first 2 shown]
	v_fmac_f32_e32 v134, 0x3f2c7751, v109
	v_add_f32_e32 v42, v47, v46
	v_fma_f32 v46, 0xbf59a7d5, v96, -v142
	v_add_f32_e32 v5, v5, v9
	v_add_f32_e32 v8, v10, v8
	v_add_f32_e32 v9, v124, v11
	v_fma_f32 v11, 0x3ee437d1, v97, -v143
	v_add_f32_e32 v10, v40, v46
	v_add_f32_e32 v5, v7, v5
	v_add_f32_e32 v4, v4, v8
	v_add_f32_e32 v7, v125, v9
	v_fma_f32 v9, 0x3dbcf732, v99, -v144
	v_add_f32_e32 v8, v11, v10
	;; [unrolled: 5-line block ×4, first 2 shown]
	v_fmac_f32_e32 v141, 0xbf4c4adb, v101
	v_add_f32_e32 v0, v2, v0
	v_add_f32_e32 v2, v133, v3
	v_fmac_f32_e32 v137, 0xbf763a35, v111
	v_add_f32_e32 v3, v5, v4
	v_fma_f32 v4, 0xbf7ba420, v106, -v174
	v_fma_f32 v5, 0x3f3d2fb0, v108, -v155
	v_add_f32_e32 v2, v134, v2
	v_add_f32_e32 v6, v41, v141
	v_fmac_f32_e32 v138, 0x3f763a35, v98
	v_add_f32_e32 v4, v4, v3
	v_fmac_f32_e32 v126, 0xbeb8f4ab, v100
	v_add_f32_e32 v3, v137, v2
	v_fma_f32 v2, 0xbf1a4643, v96, -v149
	v_add_f32_e32 v6, v138, v6
	v_add_f32_e32 v4, v5, v4
	v_fma_f32 v5, 0xbe8c1d8e, v110, -v146
	v_fma_f32 v8, 0xbe8c1d8e, v97, -v153
	v_add_f32_e32 v7, v40, v2
	v_fmac_f32_e32 v175, 0xbf763a35, v101
	v_fmac_f32_e32 v127, 0xbf06c442, v103
	v_add_f32_e32 v2, v5, v4
	v_add_f32_e32 v4, v126, v6
	;; [unrolled: 1-line block ×3, first 2 shown]
	v_fma_f32 v6, 0x3f6eb680, v99, -v145
	v_add_f32_e32 v7, v41, v175
	v_fmac_f32_e32 v176, 0x3f06c442, v98
	v_add_f32_e32 v4, v127, v4
	v_fmac_f32_e32 v128, 0x3f7ee86f, v105
	v_add_f32_e32 v5, v6, v5
	v_fma_f32 v6, 0xbf59a7d5, v102, -v165
	v_add_f32_e32 v7, v176, v7
	v_fmac_f32_e32 v177, 0x3f2c7751, v100
	v_add_f32_e32 v4, v128, v4
	v_fmac_f32_e32 v129, 0xbf2c7751, v107
	v_add_f32_e32 v5, v6, v5
	;; [unrolled: 6-line block ×4, first 2 shown]
	v_fma_f32 v8, 0xbf7ba420, v108, -v168
	v_add_f32_e32 v7, v179, v7
	v_fmac_f32_e32 v151, 0x3f7ee86f, v107
	v_add_f32_e32 v5, v139, v4
	v_fma_f32 v4, 0xbe8c1d8e, v96, -v183
	v_add_f32_e32 v6, v8, v6
	v_fma_f32 v8, 0x3ee437d1, v110, -v159
	v_add_f32_e32 v7, v151, v7
	v_fmac_f32_e32 v147, 0xbeb8f4ab, v109
	v_add_f32_e32 v9, v40, v4
	v_fma_f32 v10, 0xbf59a7d5, v97, -v185
	v_fmac_f32_e32 v189, 0xbf7ee86f, v101
	v_add_f32_e32 v4, v8, v6
	v_add_f32_e32 v6, v147, v7
	v_fmac_f32_e32 v152, 0xbf4c4adb, v111
	v_add_f32_e32 v8, v10, v9
	v_fma_f32 v9, 0x3f3d2fb0, v99, -v156
	v_add_f32_e32 v10, v41, v189
	v_fmac_f32_e32 v158, 0xbe3c28d5, v98
	v_add_f32_e32 v7, v152, v6
	v_fma_f32 v6, 0x3dbcf732, v96, -v192
	v_add_f32_e32 v8, v9, v8
	v_fma_f32 v9, 0x3ee437d1, v102, -v148
	v_add_f32_e32 v10, v158, v10
	v_fmac_f32_e32 v160, 0x3f763a35, v100
	v_add_f32_e32 v6, v40, v6
	v_fma_f32 v11, 0xbf7ba420, v97, -v193
	;; [unrolled: 6-line block ×6, first 2 shown]
	v_add_f32_e32 v6, v9, v8
	v_fmac_f32_e32 v190, 0xbf65296c, v101
	v_add_f32_e32 v8, v180, v10
	v_fmac_f32_e32 v184, 0x3f2c7751, v111
	v_add_f32_e32 v10, v46, v11
	v_fma_f32 v11, 0xbf1a4643, v108, -v207
	v_add_f32_e32 v46, v41, v190
	v_fmac_f32_e32 v186, 0xbf4c4adb, v98
	v_add_f32_e32 v9, v184, v8
	v_fma_f32 v8, 0x3ee437d1, v96, -v202
	v_add_f32_e32 v10, v11, v10
	v_fma_f32 v11, 0x3f3d2fb0, v110, -v196
	v_add_f32_e32 v46, v186, v46
	v_fmac_f32_e32 v161, 0x3e3c28d5, v100
	v_add_f32_e32 v47, v40, v8
	v_fma_f32 v48, 0xbf1a4643, v97, -v205
	v_fmac_f32_e32 v215, 0xbf2c7751, v101
	v_add_f32_e32 v8, v11, v10
	v_add_f32_e32 v10, v161, v46
	v_fmac_f32_e32 v162, 0x3f763a35, v103
	v_add_f32_e32 v11, v48, v47
	v_fma_f32 v46, 0xbf7ba420, v99, -v195
	v_add_f32_e32 v47, v41, v215
	v_fmac_f32_e32 v216, 0xbf7ee86f, v98
	v_add_f32_e32 v10, v162, v10
	v_fmac_f32_e32 v163, 0x3f2c7751, v105
	v_add_f32_e32 v11, v46, v11
	v_fma_f32 v46, 0xbe8c1d8e, v102, -v208
	v_add_f32_e32 v47, v216, v47
	v_fmac_f32_e32 v217, 0xbf4c4adb, v100
	;; [unrolled: 6-line block ×5, first 2 shown]
	v_add_f32_e32 v11, v187, v10
	v_fma_f32 v10, 0x3f3d2fb0, v96, -v221
	v_add_f32_e32 v46, v48, v46
	v_fma_f32 v48, 0xbf59a7d5, v110, -v220
	v_add_f32_e32 v47, v203, v47
	v_fmac_f32_e32 v197, 0x3f65296c, v109
	v_add_f32_e32 v49, v40, v10
	v_fmac_f32_e32 v200, 0xbeb8f4ab, v101
	v_add_f32_e32 v10, v48, v46
	v_fma_f32 v53, 0x3dbcf732, v97, -v222
	v_add_f32_e32 v46, v197, v47
	v_fma_f32 v47, 0x3f6eb680, v96, -v229
	v_add_f32_e32 v41, v41, v200
	v_fmac_f32_e32 v201, 0xbf2c7751, v98
	v_add_f32_e32 v48, v53, v49
	v_fma_f32 v49, 0xbf1a4643, v99, -v191
	v_add_f32_e32 v40, v40, v47
	v_fma_f32 v47, 0x3f3d2fb0, v97, -v113
	;; [unrolled: 6-line block ×4, first 2 shown]
	v_add_f32_e32 v41, v206, v41
	v_fmac_f32_e32 v130, 0xbf763a35, v105
	v_fmamk_f32 v57, v109, 0x3f06c442, v55
	v_mul_f32_e32 v50, 0xbf7ba420, v119
	v_add_f32_e32 v40, v47, v40
	v_fma_f32 v47, 0xbe8c1d8e, v104, -v51
	v_add_f32_e32 v48, v49, v48
	v_fma_f32 v49, 0xbe8c1d8e, v106, -v122
	v_add_f32_e32 v41, v130, v41
	v_fmac_f32_e32 v136, 0xbf4c4adb, v107
	v_add_f32_e32 v40, v47, v40
	v_fma_f32 v47, 0xbf1a4643, v106, -v58
	v_mul_f32_e32 v121, 0x3eb8f4ab, v118
	v_add_f32_e32 v57, v57, v223
	v_fmamk_f32 v59, v111, 0x3e3c28d5, v50
	v_add_f32_e32 v48, v49, v48
	v_fma_f32 v49, 0x3ee437d1, v108, -v123
	v_add_f32_e32 v41, v136, v41
	v_fmac_f32_e32 v55, 0xbf06c442, v109
	v_add_f32_e32 v40, v47, v40
	v_fma_f32 v47, 0xbf59a7d5, v108, -v60
	v_mov_b32_e32 v51, 3
	v_fmamk_f32 v228, v110, 0x3f6eb680, v121
	v_add_f32_e32 v43, v59, v57
	v_add_f32_e32 v1, v64, v1
	;; [unrolled: 1-line block ×3, first 2 shown]
	v_fmac_f32_e32 v188, 0x3eb8f4ab, v111
	v_add_f32_e32 v48, v49, v48
	v_fma_f32 v49, 0x3f6eb680, v110, -v121
	v_add_f32_e32 v53, v55, v41
	v_fmac_f32_e32 v50, 0xbe3c28d5, v111
	v_add_f32_e32 v54, v47, v40
	v_fma_f32 v52, 0xbf7ba420, v110, -v52
	v_lshlrev_b32_sdwa v51, v51, v91 dst_sel:DWORD dst_unused:UNUSED_PAD src0_sel:DWORD src1_sel:WORD_0
	v_add_f32_e32 v87, v228, v226
	v_add_f32_e32 v41, v188, v46
	;; [unrolled: 1-line block ×5, first 2 shown]
	ds_write2_b64 v51, v[0:1], v[42:43] offset1:1
	ds_write2_b64 v51, v[87:88], v[85:86] offset0:2 offset1:3
	ds_write2_b64 v51, v[83:84], v[81:82] offset0:4 offset1:5
	ds_write2_b64 v51, v[79:80], v[77:78] offset0:6 offset1:7
	ds_write2_b64 v51, v[75:76], v[44:45] offset0:8 offset1:9
	ds_write2_b64 v51, v[2:3], v[4:5] offset0:10 offset1:11
	ds_write2_b64 v51, v[6:7], v[8:9] offset0:12 offset1:13
	ds_write2_b64 v51, v[10:11], v[40:41] offset0:14 offset1:15
	ds_write_b64 v51, v[46:47] offset:128
.LBB0_17:
	s_or_b32 exec_lo, exec_lo, s1
	s_waitcnt lgkmcnt(0)
	s_barrier
	buffer_gl0_inv
	ds_read2_b64 v[0:3], v89 offset1:102
	v_add_nc_u32_e32 v43, 0x400, v89
	v_add_nc_u32_e32 v40, 0x800, v89
	;; [unrolled: 1-line block ×3, first 2 shown]
	ds_read2_b64 v[4:7], v43 offset0:76 offset1:178
	ds_read2_b64 v[8:11], v40 offset0:152 offset1:254
	;; [unrolled: 1-line block ×3, first 2 shown]
	ds_read_b64 v[41:42], v89 offset:6528
	s_waitcnt lgkmcnt(0)
	s_barrier
	buffer_gl0_inv
	v_mul_f32_e32 v51, v25, v3
	v_mul_f32_e32 v25, v25, v2
	v_fmac_f32_e32 v51, v24, v2
	v_fma_f32 v2, v24, v3, -v25
	v_mul_f32_e32 v3, v27, v5
	v_mul_f32_e32 v24, v27, v4
	;; [unrolled: 1-line block ×7, first 2 shown]
	v_fmac_f32_e32 v25, v20, v6
	v_fmac_f32_e32 v27, v22, v8
	v_mul_f32_e32 v6, v15, v42
	v_mul_f32_e32 v8, v15, v41
	;; [unrolled: 1-line block ×3, first 2 shown]
	v_fmac_f32_e32 v3, v26, v4
	v_fma_f32 v4, v26, v5, -v24
	v_fma_f32 v5, v20, v7, -v21
	;; [unrolled: 1-line block ×3, first 2 shown]
	v_fmac_f32_e32 v52, v16, v10
	v_mul_f32_e32 v9, v13, v49
	v_mul_f32_e32 v10, v13, v48
	v_fmac_f32_e32 v6, v14, v41
	v_fma_f32 v8, v14, v42, -v8
	v_mul_f32_e32 v53, v19, v47
	v_mul_f32_e32 v7, v19, v46
	v_fmac_f32_e32 v9, v12, v48
	v_fma_f32 v10, v12, v49, -v10
	v_add_f32_e32 v13, v51, v6
	v_sub_f32_e32 v14, v2, v8
	v_fmac_f32_e32 v53, v18, v46
	v_fma_f32 v7, v18, v47, -v7
	v_add_f32_e32 v15, v2, v8
	v_sub_f32_e32 v19, v4, v10
	v_mul_f32_e32 v8, 0x3f248dbb, v14
	v_add_f32_e32 v21, v3, v9
	v_fmamk_f32 v2, v13, 0x3f441b7d, v0
	v_fma_f32 v11, v16, v11, -v17
	v_sub_f32_e32 v12, v51, v6
	v_sub_f32_e32 v23, v5, v7
	v_fmac_f32_e32 v8, 0x3f7c1c5c, v19
	v_add_f32_e32 v24, v25, v53
	v_fmac_f32_e32 v2, 0x3e31d0d4, v21
	v_sub_f32_e32 v18, v3, v9
	v_mul_f32_e32 v6, 0x3f248dbb, v12
	v_sub_f32_e32 v22, v25, v53
	v_fmac_f32_e32 v8, 0x3f5db3d7, v23
	v_sub_f32_e32 v25, v27, v52
	v_sub_f32_e32 v26, v20, v11
	v_fmac_f32_e32 v2, -0.5, v24
	v_add_f32_e32 v42, v27, v52
	v_fmac_f32_e32 v6, 0x3f7c1c5c, v18
	v_add_f32_e32 v41, v5, v7
	v_fmac_f32_e32 v8, 0x3eaf1d44, v26
	v_mul_f32_e32 v7, 0xbf248dbb, v25
	v_fmac_f32_e32 v2, 0xbf708fb2, v42
	v_add_f32_e32 v10, v4, v10
	v_fmamk_f32 v4, v42, 0x3f441b7d, v0
	v_fmamk_f32 v3, v15, 0x3f441b7d, v1
	v_mul_f32_e32 v9, 0xbf248dbb, v26
	v_fmac_f32_e32 v6, 0x3f5db3d7, v22
	v_add_f32_e32 v46, v20, v11
	v_fmac_f32_e32 v7, 0x3f7c1c5c, v12
	v_sub_f32_e32 v2, v2, v8
	v_fmac_f32_e32 v4, 0x3e31d0d4, v13
	v_fmac_f32_e32 v3, 0x3e31d0d4, v10
	v_fmac_f32_e32 v9, 0x3f7c1c5c, v14
	v_fmac_f32_e32 v6, 0x3eaf1d44, v25
	v_fmamk_f32 v5, v46, 0x3f441b7d, v1
	v_fmac_f32_e32 v7, 0xbf5db3d7, v22
	v_fma_f32 v16, 2.0, v8, v2
	v_add_f32_e32 v8, v25, v12
	v_mul_f32_e32 v25, 0x3f7c1c5c, v25
	v_fmac_f32_e32 v4, -0.5, v24
	v_fmac_f32_e32 v3, -0.5, v41
	v_fmac_f32_e32 v9, 0xbf5db3d7, v23
	v_fmac_f32_e32 v5, 0x3e31d0d4, v15
	;; [unrolled: 1-line block ×3, first 2 shown]
	v_add_f32_e32 v47, v26, v14
	v_sub_f32_e32 v49, v8, v18
	v_mul_f32_e32 v26, 0x3f7c1c5c, v26
	v_fma_f32 v18, 0xbf248dbb, v18, -v25
	v_fmac_f32_e32 v4, 0xbf708fb2, v21
	v_add_f32_e32 v48, v21, v13
	v_fmamk_f32 v21, v21, 0x3f441b7d, v0
	v_fmamk_f32 v25, v10, 0x3f441b7d, v1
	v_fmac_f32_e32 v3, 0xbf708fb2, v46
	v_fmac_f32_e32 v9, 0x3eaf1d44, v19
	v_fmac_f32_e32 v5, -0.5, v41
	v_sub_f32_e32 v47, v47, v19
	v_add_f32_e32 v51, v10, v15
	v_fma_f32 v19, 0xbf248dbb, v19, -v26
	v_fmac_f32_e32 v18, 0x3f5db3d7, v22
	v_fmac_f32_e32 v21, 0x3e31d0d4, v42
	v_fmac_f32_e32 v25, 0x3e31d0d4, v46
	v_add_f32_e32 v3, v6, v3
	v_sub_f32_e32 v4, v4, v9
	v_fmac_f32_e32 v5, 0xbf708fb2, v10
	v_fmac_f32_e32 v19, 0x3f5db3d7, v23
	;; [unrolled: 1-line block ×3, first 2 shown]
	v_add_f32_e32 v10, v24, v48
	v_add_f32_e32 v12, v41, v51
	v_fmac_f32_e32 v21, -0.5, v24
	v_fmac_f32_e32 v25, -0.5, v41
	v_fma_f32 v17, -2.0, v6, v3
	v_fma_f32 v6, 2.0, v9, v4
	v_add_f32_e32 v8, v24, v0
	v_add_f32_e32 v53, v42, v48
	;; [unrolled: 1-line block ×4, first 2 shown]
	v_fmac_f32_e32 v19, 0x3eaf1d44, v14
	v_add_f32_e32 v14, v27, v10
	v_add_f32_e32 v12, v20, v12
	v_fmac_f32_e32 v21, 0xbf708fb2, v13
	v_fmac_f32_e32 v25, 0xbf708fb2, v15
	v_fmac_f32_e32 v8, -0.5, v53
	v_fmac_f32_e32 v9, -0.5, v55
	v_add_f32_e32 v14, v52, v14
	v_add_f32_e32 v15, v11, v12
	v_sub_f32_e32 v12, v21, v19
	v_add_f32_e32 v13, v18, v25
	v_add_f32_e32 v5, v7, v5
	v_mul_f32_e32 v54, 0x3f5db3d7, v49
	v_mul_f32_e32 v53, 0x3f5db3d7, v47
	v_fmac_f32_e32 v8, 0xbf5db3d7, v47
	v_fmac_f32_e32 v9, 0x3f5db3d7, v49
	v_add_f32_e32 v0, v14, v0
	v_add_f32_e32 v1, v15, v1
	v_fma_f32 v14, 2.0, v19, v12
	v_fma_f32 v15, -2.0, v18, v13
	v_fma_f32 v7, -2.0, v7, v5
	v_fma_f32 v10, 2.0, v53, v8
	v_fma_f32 v11, -2.0, v54, v9
	ds_write2_b64 v92, v[0:1], v[2:3] offset1:17
	ds_write2_b64 v92, v[4:5], v[8:9] offset0:34 offset1:51
	ds_write2_b64 v92, v[12:13], v[14:15] offset0:68 offset1:85
	;; [unrolled: 1-line block ×3, first 2 shown]
	ds_write_b64 v92, v[16:17] offset:1088
	v_add_nc_u32_e32 v4, 0xc00, v89
	s_waitcnt lgkmcnt(0)
	s_barrier
	buffer_gl0_inv
	ds_read2_b64 v[0:3], v89 offset1:102
	ds_read2_b64 v[12:15], v4 offset0:75 offset1:177
	ds_read2_b64 v[4:7], v43 offset0:76 offset1:178
	;; [unrolled: 1-line block ×3, first 2 shown]
	s_and_saveexec_b32 s1, s0
	s_cbranch_execz .LBB0_19
; %bb.18:
	ds_read_b64 v[16:17], v89 offset:3264
	ds_read_b64 v[44:45], v89 offset:6936
.LBB0_19:
	s_or_b32 exec_lo, exec_lo, s1
	s_waitcnt lgkmcnt(2)
	v_mul_f32_e32 v18, v72, v13
	v_mul_f32_e32 v19, v72, v12
	;; [unrolled: 1-line block ×4, first 2 shown]
	s_waitcnt lgkmcnt(0)
	v_mul_f32_e32 v22, v68, v9
	v_fmac_f32_e32 v18, v71, v12
	v_fma_f32 v12, v71, v13, -v19
	v_mul_f32_e32 v13, v68, v8
	v_fmac_f32_e32 v20, v73, v14
	v_fma_f32 v14, v73, v15, -v21
	v_mul_f32_e32 v15, v70, v11
	v_mul_f32_e32 v19, v70, v10
	v_fmac_f32_e32 v22, v67, v8
	v_fma_f32 v13, v67, v9, -v13
	v_sub_f32_e32 v8, v0, v18
	v_fmac_f32_e32 v15, v69, v10
	v_fma_f32 v18, v69, v11, -v19
	v_sub_f32_e32 v9, v1, v12
	v_sub_f32_e32 v10, v2, v20
	;; [unrolled: 1-line block ×7, first 2 shown]
	v_fma_f32 v0, v0, 2.0, -v8
	v_fma_f32 v1, v1, 2.0, -v9
	;; [unrolled: 1-line block ×8, first 2 shown]
	v_add_nc_u32_e32 v18, 0x1000, v94
	s_barrier
	buffer_gl0_inv
	ds_write2_b64 v89, v[0:1], v[8:9] offset1:153
	ds_write2_b64 v95, v[2:3], v[10:11] offset1:153
	ds_write2_b64 v40, v[4:5], v[12:13] offset0:101 offset1:254
	ds_write2_b64 v18, v[6:7], v[14:15] offset0:100 offset1:253
	s_and_saveexec_b32 s1, s0
	s_cbranch_execz .LBB0_21
; %bb.20:
	v_mul_f32_e32 v0, v66, v44
	v_mul_f32_e32 v2, v66, v45
	v_mov_b32_e32 v3, 3
	v_fma_f32 v0, v65, v45, -v0
	v_fmac_f32_e32 v2, v65, v44
	v_lshlrev_b32_sdwa v4, v3, v93 dst_sel:DWORD dst_unused:UNUSED_PAD src0_sel:DWORD src1_sel:WORD_0
	v_sub_f32_e32 v1, v17, v0
	v_sub_f32_e32 v0, v16, v2
	v_add_nc_u32_e32 v4, 0x1000, v4
	v_fma_f32 v3, v17, 2.0, -v1
	v_fma_f32 v2, v16, 2.0, -v0
	ds_write2_b64 v4, v[2:3], v[0:1] offset0:100 offset1:253
.LBB0_21:
	s_or_b32 exec_lo, exec_lo, s1
	v_add_nc_u32_e32 v20, 0x400, v89
	v_add_nc_u32_e32 v0, 0x1000, v89
	;; [unrolled: 1-line block ×3, first 2 shown]
	s_waitcnt lgkmcnt(0)
	s_barrier
	buffer_gl0_inv
	ds_read_b64 v[18:19], v89 offset:6528
	ds_read2_b64 v[2:5], v20 offset0:76 offset1:178
	ds_read2_b64 v[6:9], v0 offset0:100 offset1:202
	;; [unrolled: 1-line block ×3, first 2 shown]
	ds_read2_b64 v[14:17], v89 offset1:102
	s_waitcnt lgkmcnt(3)
	v_mul_f32_e32 v23, v29, v5
	v_mul_f32_e32 v24, v29, v4
	s_waitcnt lgkmcnt(2)
	v_mul_f32_e32 v25, v31, v7
	v_mul_f32_e32 v26, v31, v6
	;; [unrolled: 1-line block ×3, first 2 shown]
	v_fmac_f32_e32 v23, v28, v4
	v_fma_f32 v5, v28, v5, -v24
	v_fmac_f32_e32 v25, v30, v6
	v_fma_f32 v7, v30, v7, -v26
	v_mul_f32_e32 v21, v35, v19
	v_mul_f32_e32 v22, v35, v18
	s_waitcnt lgkmcnt(1)
	v_mul_f32_e32 v27, v37, v11
	v_mul_f32_e32 v29, v37, v10
	;; [unrolled: 1-line block ×4, first 2 shown]
	v_fmac_f32_e32 v31, v38, v8
	v_add_f32_e32 v4, v23, v25
	v_add_f32_e32 v8, v5, v7
	v_mul_f32_e32 v33, v33, v12
	v_fmac_f32_e32 v21, v34, v18
	v_fmac_f32_e32 v27, v36, v10
	v_fma_f32 v11, v36, v11, -v29
	v_fma_f32 v18, v38, v9, -v35
	v_fmac_f32_e32 v37, v32, v12
	v_sub_f32_e32 v9, v5, v7
	s_waitcnt lgkmcnt(0)
	v_fma_f32 v4, -0.5, v4, v14
	v_add_f32_e32 v10, v15, v5
	v_sub_f32_e32 v12, v23, v25
	v_fma_f32 v5, -0.5, v8, v15
	v_fma_f32 v19, v34, v19, -v22
	v_fmamk_f32 v8, v9, 0xbf5db3d7, v4
	v_fmac_f32_e32 v4, 0x3f5db3d7, v9
	v_add_f32_e32 v7, v10, v7
	v_add_f32_e32 v10, v27, v31
	v_fmamk_f32 v9, v12, 0x3f5db3d7, v5
	v_fmac_f32_e32 v5, 0xbf5db3d7, v12
	v_add_f32_e32 v12, v11, v18
	v_fma_f32 v22, v32, v13, -v33
	v_add_f32_e32 v6, v14, v23
	v_add_f32_e32 v13, v16, v27
	v_fma_f32 v16, -0.5, v10, v16
	v_sub_f32_e32 v14, v11, v18
	v_add_f32_e32 v11, v17, v11
	v_fmac_f32_e32 v17, -0.5, v12
	v_sub_f32_e32 v15, v27, v31
	v_add_f32_e32 v10, v13, v31
	v_fmamk_f32 v12, v14, 0xbf5db3d7, v16
	v_fmac_f32_e32 v16, 0x3f5db3d7, v14
	v_add_f32_e32 v14, v37, v21
	v_fmamk_f32 v13, v15, 0x3f5db3d7, v17
	v_fmac_f32_e32 v17, 0xbf5db3d7, v15
	v_add_f32_e32 v15, v22, v19
	v_add_f32_e32 v11, v11, v18
	v_add_f32_e32 v18, v2, v37
	v_sub_f32_e32 v23, v22, v19
	v_add_f32_e32 v22, v3, v22
	v_fma_f32 v2, -0.5, v14, v2
	v_fmac_f32_e32 v3, -0.5, v15
	v_sub_f32_e32 v24, v37, v21
	v_add_f32_e32 v6, v6, v25
	v_add_f32_e32 v14, v18, v21
	;; [unrolled: 1-line block ×3, first 2 shown]
	v_fmamk_f32 v18, v23, 0xbf5db3d7, v2
	v_fmamk_f32 v19, v24, 0x3f5db3d7, v3
	v_fmac_f32_e32 v2, 0x3f5db3d7, v23
	v_fmac_f32_e32 v3, 0xbf5db3d7, v24
	ds_write2_b64 v89, v[6:7], v[10:11] offset1:102
	ds_write2_b64 v0, v[4:5], v[16:17] offset0:100 offset1:202
	ds_write2_b64 v20, v[14:15], v[8:9] offset0:76 offset1:178
	;; [unrolled: 1-line block ×3, first 2 shown]
	ds_write_b64 v89, v[2:3] offset:6528
	s_waitcnt lgkmcnt(0)
	s_barrier
	buffer_gl0_inv
	s_and_b32 exec_lo, exec_lo, vcc_lo
	s_cbranch_execz .LBB0_23
; %bb.22:
	global_load_dwordx2 v[2:3], v89, s[12:13]
	ds_read_b64 v[4:5], v89
	s_mov_b32 s0, 0x672e4abd
	s_mov_b32 s1, 0x3f51d8f5
	v_mad_u64_u32 v[8:9], null, s4, v90, 0
	s_mul_i32 s2, s5, 0x1b0
	s_mul_i32 s3, s4, 0x1b0
	s_waitcnt vmcnt(0) lgkmcnt(0)
	v_mul_f32_e32 v6, v5, v3
	v_mul_f32_e32 v3, v4, v3
	v_fmac_f32_e32 v6, v4, v2
	v_fma_f32 v4, v2, v5, -v3
	v_cvt_f64_f32_e32 v[2:3], v6
	v_cvt_f64_f32_e32 v[4:5], v4
	v_mad_u64_u32 v[6:7], null, s6, v62, 0
	v_mad_u64_u32 v[10:11], null, s7, v62, v[7:8]
	;; [unrolled: 1-line block ×3, first 2 shown]
	v_mov_b32_e32 v7, v10
	s_mul_hi_u32 s5, s4, 0x1b0
	v_mul_f64 v[2:3], v[2:3], s[0:1]
	v_mul_f64 v[4:5], v[4:5], s[0:1]
	s_add_i32 s2, s5, s2
	v_add_co_u32 v12, s4, s12, v89
	v_mov_b32_e32 v9, v11
	v_add_co_ci_u32_e64 v13, null, s13, 0, s4
	v_cvt_f32_f64_e32 v2, v[2:3]
	v_cvt_f32_f64_e32 v3, v[4:5]
	v_lshlrev_b64 v[4:5], 3, v[6:7]
	v_lshlrev_b64 v[6:7], 3, v[8:9]
	v_add_co_u32 v4, vcc_lo, s14, v4
	v_add_co_ci_u32_e32 v5, vcc_lo, s15, v5, vcc_lo
	v_add_co_u32 v6, vcc_lo, v4, v6
	v_add_co_ci_u32_e32 v7, vcc_lo, v5, v7, vcc_lo
	global_store_dwordx2 v[6:7], v[2:3], off
	global_load_dwordx2 v[8:9], v89, s[12:13] offset:432
	ds_read2_b64 v[2:5], v89 offset0:54 offset1:108
	v_add_co_u32 v6, vcc_lo, v6, s3
	v_add_co_ci_u32_e32 v7, vcc_lo, s2, v7, vcc_lo
	s_waitcnt vmcnt(0) lgkmcnt(0)
	v_mul_f32_e32 v10, v3, v9
	v_mul_f32_e32 v9, v2, v9
	v_fmac_f32_e32 v10, v2, v8
	v_fma_f32 v8, v8, v3, -v9
	v_cvt_f64_f32_e32 v[2:3], v10
	v_cvt_f64_f32_e32 v[8:9], v8
	v_mul_f64 v[2:3], v[2:3], s[0:1]
	v_mul_f64 v[8:9], v[8:9], s[0:1]
	v_cvt_f32_f64_e32 v2, v[2:3]
	v_cvt_f32_f64_e32 v3, v[8:9]
	global_store_dwordx2 v[6:7], v[2:3], off
	global_load_dwordx2 v[2:3], v89, s[12:13] offset:864
	v_add_co_u32 v6, vcc_lo, v6, s3
	v_add_co_ci_u32_e32 v7, vcc_lo, s2, v7, vcc_lo
	s_waitcnt vmcnt(0)
	v_mul_f32_e32 v8, v5, v3
	v_mul_f32_e32 v3, v4, v3
	v_fmac_f32_e32 v8, v4, v2
	v_fma_f32 v4, v2, v5, -v3
	v_cvt_f64_f32_e32 v[2:3], v8
	v_cvt_f64_f32_e32 v[4:5], v4
	v_mul_f64 v[2:3], v[2:3], s[0:1]
	v_mul_f64 v[4:5], v[4:5], s[0:1]
	v_cvt_f32_f64_e32 v2, v[2:3]
	v_cvt_f32_f64_e32 v3, v[4:5]
	global_store_dwordx2 v[6:7], v[2:3], off
	global_load_dwordx2 v[8:9], v89, s[12:13] offset:1296
	ds_read2_b64 v[2:5], v89 offset0:162 offset1:216
	v_add_co_u32 v6, vcc_lo, v6, s3
	v_add_co_ci_u32_e32 v7, vcc_lo, s2, v7, vcc_lo
	s_waitcnt vmcnt(0) lgkmcnt(0)
	v_mul_f32_e32 v10, v3, v9
	v_mul_f32_e32 v9, v2, v9
	v_fmac_f32_e32 v10, v2, v8
	v_fma_f32 v8, v8, v3, -v9
	v_cvt_f64_f32_e32 v[2:3], v10
	v_cvt_f64_f32_e32 v[8:9], v8
	v_mul_f64 v[2:3], v[2:3], s[0:1]
	v_mul_f64 v[8:9], v[8:9], s[0:1]
	v_cvt_f32_f64_e32 v2, v[2:3]
	v_cvt_f32_f64_e32 v3, v[8:9]
	global_store_dwordx2 v[6:7], v[2:3], off
	global_load_dwordx2 v[2:3], v89, s[12:13] offset:1728
	v_add_co_u32 v6, vcc_lo, v6, s3
	v_add_co_ci_u32_e32 v7, vcc_lo, s2, v7, vcc_lo
	s_waitcnt vmcnt(0)
	v_mul_f32_e32 v8, v5, v3
	v_mul_f32_e32 v3, v4, v3
	v_fmac_f32_e32 v8, v4, v2
	v_fma_f32 v4, v2, v5, -v3
	v_cvt_f64_f32_e32 v[2:3], v8
	v_cvt_f64_f32_e32 v[4:5], v4
	v_add_co_u32 v8, vcc_lo, 0x800, v12
	v_add_co_ci_u32_e32 v9, vcc_lo, 0, v13, vcc_lo
	v_mul_f64 v[2:3], v[2:3], s[0:1]
	v_mul_f64 v[4:5], v[4:5], s[0:1]
	v_cvt_f32_f64_e32 v2, v[2:3]
	v_cvt_f32_f64_e32 v3, v[4:5]
	global_store_dwordx2 v[6:7], v[2:3], off
	global_load_dwordx2 v[10:11], v[8:9], off offset:112
	ds_read2_b64 v[2:5], v1 offset0:14 offset1:68
	v_add_co_u32 v6, vcc_lo, v6, s3
	v_add_co_ci_u32_e32 v7, vcc_lo, s2, v7, vcc_lo
	s_waitcnt vmcnt(0) lgkmcnt(0)
	v_mul_f32_e32 v14, v3, v11
	v_mul_f32_e32 v11, v2, v11
	v_fmac_f32_e32 v14, v2, v10
	v_fma_f32 v10, v10, v3, -v11
	v_cvt_f64_f32_e32 v[2:3], v14
	v_cvt_f64_f32_e32 v[10:11], v10
	v_mul_f64 v[2:3], v[2:3], s[0:1]
	v_mul_f64 v[10:11], v[10:11], s[0:1]
	v_cvt_f32_f64_e32 v2, v[2:3]
	v_cvt_f32_f64_e32 v3, v[10:11]
	global_store_dwordx2 v[6:7], v[2:3], off
	global_load_dwordx2 v[2:3], v[8:9], off offset:544
	s_waitcnt vmcnt(0)
	v_mul_f32_e32 v10, v5, v3
	v_mul_f32_e32 v3, v4, v3
	v_fmac_f32_e32 v10, v4, v2
	v_fma_f32 v4, v2, v5, -v3
	v_cvt_f64_f32_e32 v[2:3], v10
	v_cvt_f64_f32_e32 v[4:5], v4
	v_mul_f64 v[2:3], v[2:3], s[0:1]
	v_mul_f64 v[4:5], v[4:5], s[0:1]
	v_cvt_f32_f64_e32 v2, v[2:3]
	v_cvt_f32_f64_e32 v3, v[4:5]
	v_add_co_u32 v5, vcc_lo, v6, s3
	v_add_co_ci_u32_e32 v6, vcc_lo, s2, v7, vcc_lo
	global_store_dwordx2 v[5:6], v[2:3], off
	global_load_dwordx2 v[10:11], v[8:9], off offset:976
	ds_read2_b64 v[1:4], v1 offset0:122 offset1:176
	v_add_co_u32 v5, vcc_lo, v5, s3
	v_add_co_ci_u32_e32 v6, vcc_lo, s2, v6, vcc_lo
	s_waitcnt vmcnt(0) lgkmcnt(0)
	v_mul_f32_e32 v7, v2, v11
	v_mul_f32_e32 v11, v1, v11
	v_fmac_f32_e32 v7, v1, v10
	v_fma_f32 v10, v10, v2, -v11
	v_cvt_f64_f32_e32 v[1:2], v7
	v_cvt_f64_f32_e32 v[10:11], v10
	v_mul_f64 v[1:2], v[1:2], s[0:1]
	v_mul_f64 v[10:11], v[10:11], s[0:1]
	v_cvt_f32_f64_e32 v1, v[1:2]
	v_cvt_f32_f64_e32 v2, v[10:11]
	global_store_dwordx2 v[5:6], v[1:2], off
	global_load_dwordx2 v[1:2], v[8:9], off offset:1408
	v_add_co_u32 v5, vcc_lo, v5, s3
	v_add_co_ci_u32_e32 v6, vcc_lo, s2, v6, vcc_lo
	s_waitcnt vmcnt(0)
	v_mul_f32_e32 v7, v4, v2
	v_mul_f32_e32 v2, v3, v2
	v_fmac_f32_e32 v7, v3, v1
	v_fma_f32 v3, v1, v4, -v2
	v_cvt_f64_f32_e32 v[1:2], v7
	v_cvt_f64_f32_e32 v[3:4], v3
	v_mul_f64 v[1:2], v[1:2], s[0:1]
	v_mul_f64 v[3:4], v[3:4], s[0:1]
	v_cvt_f32_f64_e32 v1, v[1:2]
	v_cvt_f32_f64_e32 v2, v[3:4]
	global_store_dwordx2 v[5:6], v[1:2], off
	global_load_dwordx2 v[7:8], v[8:9], off offset:1840
	v_add_nc_u32_e32 v1, 0xc00, v89
	v_add_co_u32 v5, vcc_lo, v5, s3
	v_add_co_ci_u32_e32 v6, vcc_lo, s2, v6, vcc_lo
	ds_read2_b64 v[1:4], v1 offset0:102 offset1:156
	s_waitcnt vmcnt(0) lgkmcnt(0)
	v_mul_f32_e32 v9, v2, v8
	v_mul_f32_e32 v8, v1, v8
	v_fmac_f32_e32 v9, v1, v7
	v_fma_f32 v7, v7, v2, -v8
	v_cvt_f64_f32_e32 v[1:2], v9
	v_cvt_f64_f32_e32 v[7:8], v7
	v_mul_f64 v[1:2], v[1:2], s[0:1]
	v_mul_f64 v[7:8], v[7:8], s[0:1]
	v_cvt_f32_f64_e32 v1, v[1:2]
	v_cvt_f32_f64_e32 v2, v[7:8]
	v_add_co_u32 v7, vcc_lo, 0x1000, v12
	v_add_co_ci_u32_e32 v8, vcc_lo, 0, v13, vcc_lo
	global_store_dwordx2 v[5:6], v[1:2], off
	global_load_dwordx2 v[1:2], v[7:8], off offset:224
	v_add_co_u32 v5, vcc_lo, v5, s3
	v_add_co_ci_u32_e32 v6, vcc_lo, s2, v6, vcc_lo
	s_waitcnt vmcnt(0)
	v_mul_f32_e32 v9, v4, v2
	v_mul_f32_e32 v2, v3, v2
	v_fmac_f32_e32 v9, v3, v1
	v_fma_f32 v3, v1, v4, -v2
	v_cvt_f64_f32_e32 v[1:2], v9
	v_cvt_f64_f32_e32 v[3:4], v3
	v_mul_f64 v[1:2], v[1:2], s[0:1]
	v_mul_f64 v[3:4], v[3:4], s[0:1]
	v_cvt_f32_f64_e32 v1, v[1:2]
	v_cvt_f32_f64_e32 v2, v[3:4]
	global_store_dwordx2 v[5:6], v[1:2], off
	global_load_dwordx2 v[9:10], v[7:8], off offset:656
	ds_read2_b64 v[1:4], v0 offset0:82 offset1:136
	v_add_co_u32 v5, vcc_lo, v5, s3
	v_add_co_ci_u32_e32 v6, vcc_lo, s2, v6, vcc_lo
	s_waitcnt vmcnt(0) lgkmcnt(0)
	v_mul_f32_e32 v11, v2, v10
	v_mul_f32_e32 v10, v1, v10
	v_fmac_f32_e32 v11, v1, v9
	v_fma_f32 v9, v9, v2, -v10
	v_cvt_f64_f32_e32 v[1:2], v11
	v_cvt_f64_f32_e32 v[9:10], v9
	v_mul_f64 v[1:2], v[1:2], s[0:1]
	v_mul_f64 v[9:10], v[9:10], s[0:1]
	v_cvt_f32_f64_e32 v1, v[1:2]
	v_cvt_f32_f64_e32 v2, v[9:10]
	global_store_dwordx2 v[5:6], v[1:2], off
	global_load_dwordx2 v[1:2], v[7:8], off offset:1088
	s_waitcnt vmcnt(0)
	v_mul_f32_e32 v9, v4, v2
	v_mul_f32_e32 v2, v3, v2
	v_fmac_f32_e32 v9, v3, v1
	v_fma_f32 v3, v1, v4, -v2
	v_cvt_f64_f32_e32 v[1:2], v9
	v_cvt_f64_f32_e32 v[3:4], v3
	v_mul_f64 v[1:2], v[1:2], s[0:1]
	v_mul_f64 v[3:4], v[3:4], s[0:1]
	v_cvt_f32_f64_e32 v1, v[1:2]
	v_cvt_f32_f64_e32 v2, v[3:4]
	v_add_co_u32 v4, vcc_lo, v5, s3
	v_add_co_ci_u32_e32 v5, vcc_lo, s2, v6, vcc_lo
	global_store_dwordx2 v[4:5], v[1:2], off
	global_load_dwordx2 v[9:10], v[7:8], off offset:1520
	ds_read2_b64 v[0:3], v0 offset0:190 offset1:244
	v_add_co_u32 v4, vcc_lo, v4, s3
	v_add_co_ci_u32_e32 v5, vcc_lo, s2, v5, vcc_lo
	s_waitcnt vmcnt(0) lgkmcnt(0)
	v_mul_f32_e32 v6, v1, v10
	v_mul_f32_e32 v10, v0, v10
	v_fmac_f32_e32 v6, v0, v9
	v_fma_f32 v9, v9, v1, -v10
	v_cvt_f64_f32_e32 v[0:1], v6
	v_cvt_f64_f32_e32 v[9:10], v9
	v_mul_f64 v[0:1], v[0:1], s[0:1]
	v_mul_f64 v[9:10], v[9:10], s[0:1]
	v_cvt_f32_f64_e32 v0, v[0:1]
	v_cvt_f32_f64_e32 v1, v[9:10]
	global_store_dwordx2 v[4:5], v[0:1], off
	global_load_dwordx2 v[0:1], v[7:8], off offset:1952
	v_add_co_u32 v4, vcc_lo, v4, s3
	v_add_co_ci_u32_e32 v5, vcc_lo, s2, v5, vcc_lo
	s_waitcnt vmcnt(0)
	v_mul_f32_e32 v6, v3, v1
	v_mul_f32_e32 v1, v2, v1
	v_fmac_f32_e32 v6, v2, v0
	v_fma_f32 v2, v0, v3, -v1
	v_cvt_f64_f32_e32 v[0:1], v6
	v_cvt_f64_f32_e32 v[2:3], v2
	v_add_co_u32 v6, vcc_lo, 0x1800, v12
	v_add_co_ci_u32_e32 v7, vcc_lo, 0, v13, vcc_lo
	v_mul_f64 v[0:1], v[0:1], s[0:1]
	v_mul_f64 v[2:3], v[2:3], s[0:1]
	v_cvt_f32_f64_e32 v0, v[0:1]
	v_cvt_f32_f64_e32 v1, v[2:3]
	global_store_dwordx2 v[4:5], v[0:1], off
	global_load_dwordx2 v[8:9], v[6:7], off offset:336
	v_add_nc_u32_e32 v0, 0x1800, v89
	v_add_co_u32 v4, vcc_lo, v4, s3
	v_add_co_ci_u32_e32 v5, vcc_lo, s2, v5, vcc_lo
	ds_read2_b64 v[0:3], v0 offset0:42 offset1:96
	s_waitcnt vmcnt(0) lgkmcnt(0)
	v_mul_f32_e32 v10, v1, v9
	v_mul_f32_e32 v9, v0, v9
	v_fmac_f32_e32 v10, v0, v8
	v_fma_f32 v8, v8, v1, -v9
	v_cvt_f64_f32_e32 v[0:1], v10
	v_cvt_f64_f32_e32 v[8:9], v8
	v_mul_f64 v[0:1], v[0:1], s[0:1]
	v_mul_f64 v[8:9], v[8:9], s[0:1]
	v_cvt_f32_f64_e32 v0, v[0:1]
	v_cvt_f32_f64_e32 v1, v[8:9]
	global_store_dwordx2 v[4:5], v[0:1], off
	global_load_dwordx2 v[0:1], v[6:7], off offset:768
	s_waitcnt vmcnt(0)
	v_mul_f32_e32 v6, v3, v1
	v_mul_f32_e32 v1, v2, v1
	v_fmac_f32_e32 v6, v2, v0
	v_fma_f32 v2, v0, v3, -v1
	v_cvt_f64_f32_e32 v[0:1], v6
	v_cvt_f64_f32_e32 v[2:3], v2
	v_mul_f64 v[0:1], v[0:1], s[0:1]
	v_mul_f64 v[2:3], v[2:3], s[0:1]
	v_cvt_f32_f64_e32 v0, v[0:1]
	v_cvt_f32_f64_e32 v1, v[2:3]
	v_add_co_u32 v2, vcc_lo, v4, s3
	v_add_co_ci_u32_e32 v3, vcc_lo, s2, v5, vcc_lo
	global_store_dwordx2 v[2:3], v[0:1], off
.LBB0_23:
	s_endpgm
	.section	.rodata,"a",@progbits
	.p2align	6, 0x0
	.amdhsa_kernel bluestein_single_back_len918_dim1_sp_op_CI_CI
		.amdhsa_group_segment_fixed_size 7344
		.amdhsa_private_segment_fixed_size 0
		.amdhsa_kernarg_size 104
		.amdhsa_user_sgpr_count 6
		.amdhsa_user_sgpr_private_segment_buffer 1
		.amdhsa_user_sgpr_dispatch_ptr 0
		.amdhsa_user_sgpr_queue_ptr 0
		.amdhsa_user_sgpr_kernarg_segment_ptr 1
		.amdhsa_user_sgpr_dispatch_id 0
		.amdhsa_user_sgpr_flat_scratch_init 0
		.amdhsa_user_sgpr_private_segment_size 0
		.amdhsa_wavefront_size32 1
		.amdhsa_uses_dynamic_stack 0
		.amdhsa_system_sgpr_private_segment_wavefront_offset 0
		.amdhsa_system_sgpr_workgroup_id_x 1
		.amdhsa_system_sgpr_workgroup_id_y 0
		.amdhsa_system_sgpr_workgroup_id_z 0
		.amdhsa_system_sgpr_workgroup_info 0
		.amdhsa_system_vgpr_workitem_id 0
		.amdhsa_next_free_vgpr 256
		.amdhsa_next_free_sgpr 16
		.amdhsa_reserve_vcc 1
		.amdhsa_reserve_flat_scratch 0
		.amdhsa_float_round_mode_32 0
		.amdhsa_float_round_mode_16_64 0
		.amdhsa_float_denorm_mode_32 3
		.amdhsa_float_denorm_mode_16_64 3
		.amdhsa_dx10_clamp 1
		.amdhsa_ieee_mode 1
		.amdhsa_fp16_overflow 0
		.amdhsa_workgroup_processor_mode 1
		.amdhsa_memory_ordered 1
		.amdhsa_forward_progress 0
		.amdhsa_shared_vgpr_count 0
		.amdhsa_exception_fp_ieee_invalid_op 0
		.amdhsa_exception_fp_denorm_src 0
		.amdhsa_exception_fp_ieee_div_zero 0
		.amdhsa_exception_fp_ieee_overflow 0
		.amdhsa_exception_fp_ieee_underflow 0
		.amdhsa_exception_fp_ieee_inexact 0
		.amdhsa_exception_int_div_zero 0
	.end_amdhsa_kernel
	.text
.Lfunc_end0:
	.size	bluestein_single_back_len918_dim1_sp_op_CI_CI, .Lfunc_end0-bluestein_single_back_len918_dim1_sp_op_CI_CI
                                        ; -- End function
	.section	.AMDGPU.csdata,"",@progbits
; Kernel info:
; codeLenInByte = 18496
; NumSgprs: 18
; NumVgprs: 256
; ScratchSize: 0
; MemoryBound: 0
; FloatMode: 240
; IeeeMode: 1
; LDSByteSize: 7344 bytes/workgroup (compile time only)
; SGPRBlocks: 2
; VGPRBlocks: 31
; NumSGPRsForWavesPerEU: 18
; NumVGPRsForWavesPerEU: 256
; Occupancy: 4
; WaveLimiterHint : 1
; COMPUTE_PGM_RSRC2:SCRATCH_EN: 0
; COMPUTE_PGM_RSRC2:USER_SGPR: 6
; COMPUTE_PGM_RSRC2:TRAP_HANDLER: 0
; COMPUTE_PGM_RSRC2:TGID_X_EN: 1
; COMPUTE_PGM_RSRC2:TGID_Y_EN: 0
; COMPUTE_PGM_RSRC2:TGID_Z_EN: 0
; COMPUTE_PGM_RSRC2:TIDIG_COMP_CNT: 0
	.text
	.p2alignl 6, 3214868480
	.fill 48, 4, 3214868480
	.type	__hip_cuid_3b2c18428e67cb6c,@object ; @__hip_cuid_3b2c18428e67cb6c
	.section	.bss,"aw",@nobits
	.globl	__hip_cuid_3b2c18428e67cb6c
__hip_cuid_3b2c18428e67cb6c:
	.byte	0                               ; 0x0
	.size	__hip_cuid_3b2c18428e67cb6c, 1

	.ident	"AMD clang version 19.0.0git (https://github.com/RadeonOpenCompute/llvm-project roc-6.4.0 25133 c7fe45cf4b819c5991fe208aaa96edf142730f1d)"
	.section	".note.GNU-stack","",@progbits
	.addrsig
	.addrsig_sym __hip_cuid_3b2c18428e67cb6c
	.amdgpu_metadata
---
amdhsa.kernels:
  - .args:
      - .actual_access:  read_only
        .address_space:  global
        .offset:         0
        .size:           8
        .value_kind:     global_buffer
      - .actual_access:  read_only
        .address_space:  global
        .offset:         8
        .size:           8
        .value_kind:     global_buffer
      - .actual_access:  read_only
        .address_space:  global
        .offset:         16
        .size:           8
        .value_kind:     global_buffer
      - .actual_access:  read_only
        .address_space:  global
        .offset:         24
        .size:           8
        .value_kind:     global_buffer
      - .actual_access:  read_only
        .address_space:  global
        .offset:         32
        .size:           8
        .value_kind:     global_buffer
      - .offset:         40
        .size:           8
        .value_kind:     by_value
      - .address_space:  global
        .offset:         48
        .size:           8
        .value_kind:     global_buffer
      - .address_space:  global
        .offset:         56
        .size:           8
        .value_kind:     global_buffer
      - .address_space:  global
        .offset:         64
        .size:           8
        .value_kind:     global_buffer
      - .address_space:  global
        .offset:         72
        .size:           8
        .value_kind:     global_buffer
      - .offset:         80
        .size:           4
        .value_kind:     by_value
      - .address_space:  global
        .offset:         88
        .size:           8
        .value_kind:     global_buffer
      - .address_space:  global
        .offset:         96
        .size:           8
        .value_kind:     global_buffer
    .group_segment_fixed_size: 7344
    .kernarg_segment_align: 8
    .kernarg_segment_size: 104
    .language:       OpenCL C
    .language_version:
      - 2
      - 0
    .max_flat_workgroup_size: 102
    .name:           bluestein_single_back_len918_dim1_sp_op_CI_CI
    .private_segment_fixed_size: 0
    .sgpr_count:     18
    .sgpr_spill_count: 0
    .symbol:         bluestein_single_back_len918_dim1_sp_op_CI_CI.kd
    .uniform_work_group_size: 1
    .uses_dynamic_stack: false
    .vgpr_count:     256
    .vgpr_spill_count: 0
    .wavefront_size: 32
    .workgroup_processor_mode: 1
amdhsa.target:   amdgcn-amd-amdhsa--gfx1030
amdhsa.version:
  - 1
  - 2
...

	.end_amdgpu_metadata
